;; amdgpu-corpus repo=ROCm/rocFFT kind=compiled arch=gfx950 opt=O3
	.text
	.amdgcn_target "amdgcn-amd-amdhsa--gfx950"
	.amdhsa_code_object_version 6
	.protected	fft_rtc_back_len1008_factors_2_2_2_2_3_3_7_wgs_56_tpt_56_halfLds_sp_ip_CI_unitstride_sbrr_dirReg ; -- Begin function fft_rtc_back_len1008_factors_2_2_2_2_3_3_7_wgs_56_tpt_56_halfLds_sp_ip_CI_unitstride_sbrr_dirReg
	.globl	fft_rtc_back_len1008_factors_2_2_2_2_3_3_7_wgs_56_tpt_56_halfLds_sp_ip_CI_unitstride_sbrr_dirReg
	.p2align	8
	.type	fft_rtc_back_len1008_factors_2_2_2_2_3_3_7_wgs_56_tpt_56_halfLds_sp_ip_CI_unitstride_sbrr_dirReg,@function
fft_rtc_back_len1008_factors_2_2_2_2_3_3_7_wgs_56_tpt_56_halfLds_sp_ip_CI_unitstride_sbrr_dirReg: ; @fft_rtc_back_len1008_factors_2_2_2_2_3_3_7_wgs_56_tpt_56_halfLds_sp_ip_CI_unitstride_sbrr_dirReg
; %bb.0:
	s_load_dwordx2 s[8:9], s[0:1], 0x50
	s_load_dwordx4 s[4:7], s[0:1], 0x0
	s_load_dwordx2 s[10:11], s[0:1], 0x18
	v_mul_u32_u24_e32 v1, 0x493, v0
	v_add_u32_sdwa v6, s2, v1 dst_sel:DWORD dst_unused:UNUSED_PAD src0_sel:DWORD src1_sel:WORD_1
	v_mov_b32_e32 v4, 0
	s_waitcnt lgkmcnt(0)
	v_cmp_lt_u64_e64 s[2:3], s[6:7], 2
	v_mov_b32_e32 v7, v4
	s_and_b64 vcc, exec, s[2:3]
	v_mov_b64_e32 v[2:3], 0
	s_cbranch_vccnz .LBB0_8
; %bb.1:
	s_load_dwordx2 s[2:3], s[0:1], 0x10
	s_add_u32 s12, s10, 8
	s_addc_u32 s13, s11, 0
	s_mov_b64 s[14:15], 1
	v_mov_b64_e32 v[2:3], 0
	s_waitcnt lgkmcnt(0)
	s_add_u32 s16, s2, 8
	s_addc_u32 s17, s3, 0
.LBB0_2:                                ; =>This Inner Loop Header: Depth=1
	s_load_dwordx2 s[18:19], s[16:17], 0x0
                                        ; implicit-def: $vgpr8_vgpr9
	s_waitcnt lgkmcnt(0)
	v_or_b32_e32 v5, s19, v7
	v_cmp_ne_u64_e32 vcc, 0, v[4:5]
	s_and_saveexec_b64 s[2:3], vcc
	s_xor_b64 s[20:21], exec, s[2:3]
	s_cbranch_execz .LBB0_4
; %bb.3:                                ;   in Loop: Header=BB0_2 Depth=1
	v_cvt_f32_u32_e32 v1, s18
	v_cvt_f32_u32_e32 v5, s19
	s_sub_u32 s2, 0, s18
	s_subb_u32 s3, 0, s19
	v_fmac_f32_e32 v1, 0x4f800000, v5
	v_rcp_f32_e32 v1, v1
	s_nop 0
	v_mul_f32_e32 v1, 0x5f7ffffc, v1
	v_mul_f32_e32 v5, 0x2f800000, v1
	v_trunc_f32_e32 v5, v5
	v_fmac_f32_e32 v1, 0xcf800000, v5
	v_cvt_u32_f32_e32 v5, v5
	v_cvt_u32_f32_e32 v1, v1
	v_mul_lo_u32 v8, s2, v5
	v_mul_hi_u32 v10, s2, v1
	v_mul_lo_u32 v9, s3, v1
	v_add_u32_e32 v10, v10, v8
	v_mul_lo_u32 v12, s2, v1
	v_add_u32_e32 v13, v10, v9
	v_mul_hi_u32 v8, v1, v12
	v_mul_hi_u32 v11, v1, v13
	v_mul_lo_u32 v10, v1, v13
	v_mov_b32_e32 v9, v4
	v_lshl_add_u64 v[8:9], v[8:9], 0, v[10:11]
	v_mul_hi_u32 v11, v5, v12
	v_mul_lo_u32 v12, v5, v12
	v_add_co_u32_e32 v8, vcc, v8, v12
	v_mul_hi_u32 v10, v5, v13
	s_nop 0
	v_addc_co_u32_e32 v8, vcc, v9, v11, vcc
	v_mov_b32_e32 v9, v4
	s_nop 0
	v_addc_co_u32_e32 v11, vcc, 0, v10, vcc
	v_mul_lo_u32 v10, v5, v13
	v_lshl_add_u64 v[8:9], v[8:9], 0, v[10:11]
	v_add_co_u32_e32 v1, vcc, v1, v8
	v_mul_lo_u32 v10, s2, v1
	s_nop 0
	v_addc_co_u32_e32 v5, vcc, v5, v9, vcc
	v_mul_lo_u32 v8, s2, v5
	v_mul_hi_u32 v9, s2, v1
	v_add_u32_e32 v8, v9, v8
	v_mul_lo_u32 v9, s3, v1
	v_add_u32_e32 v12, v8, v9
	v_mul_hi_u32 v14, v5, v10
	v_mul_lo_u32 v15, v5, v10
	v_mul_hi_u32 v9, v1, v12
	v_mul_lo_u32 v8, v1, v12
	v_mul_hi_u32 v10, v1, v10
	v_mov_b32_e32 v11, v4
	v_lshl_add_u64 v[8:9], v[10:11], 0, v[8:9]
	v_add_co_u32_e32 v8, vcc, v8, v15
	v_mul_hi_u32 v13, v5, v12
	s_nop 0
	v_addc_co_u32_e32 v8, vcc, v9, v14, vcc
	v_mul_lo_u32 v10, v5, v12
	s_nop 0
	v_addc_co_u32_e32 v11, vcc, 0, v13, vcc
	v_mov_b32_e32 v9, v4
	v_lshl_add_u64 v[8:9], v[8:9], 0, v[10:11]
	v_add_co_u32_e32 v1, vcc, v1, v8
	v_mul_hi_u32 v10, v6, v1
	s_nop 0
	v_addc_co_u32_e32 v5, vcc, v5, v9, vcc
	v_mad_u64_u32 v[8:9], s[2:3], v6, v5, 0
	v_mov_b32_e32 v11, v4
	v_lshl_add_u64 v[8:9], v[10:11], 0, v[8:9]
	v_mad_u64_u32 v[12:13], s[2:3], v7, v1, 0
	v_add_co_u32_e32 v1, vcc, v8, v12
	v_mad_u64_u32 v[10:11], s[2:3], v7, v5, 0
	s_nop 0
	v_addc_co_u32_e32 v8, vcc, v9, v13, vcc
	v_mov_b32_e32 v9, v4
	s_nop 0
	v_addc_co_u32_e32 v11, vcc, 0, v11, vcc
	v_lshl_add_u64 v[8:9], v[8:9], 0, v[10:11]
	v_mul_lo_u32 v1, s19, v8
	v_mul_lo_u32 v5, s18, v9
	v_mad_u64_u32 v[10:11], s[2:3], s18, v8, 0
	v_add3_u32 v1, v11, v5, v1
	v_sub_u32_e32 v5, v7, v1
	v_mov_b32_e32 v11, s19
	v_sub_co_u32_e32 v14, vcc, v6, v10
	v_lshl_add_u64 v[12:13], v[8:9], 0, 1
	s_nop 0
	v_subb_co_u32_e64 v5, s[2:3], v5, v11, vcc
	v_subrev_co_u32_e64 v10, s[2:3], s18, v14
	v_subb_co_u32_e32 v1, vcc, v7, v1, vcc
	s_nop 0
	v_subbrev_co_u32_e64 v5, s[2:3], 0, v5, s[2:3]
	v_cmp_le_u32_e64 s[2:3], s19, v5
	v_cmp_le_u32_e32 vcc, s19, v1
	s_nop 0
	v_cndmask_b32_e64 v11, 0, -1, s[2:3]
	v_cmp_le_u32_e64 s[2:3], s18, v10
	s_nop 1
	v_cndmask_b32_e64 v10, 0, -1, s[2:3]
	v_cmp_eq_u32_e64 s[2:3], s19, v5
	s_nop 1
	v_cndmask_b32_e64 v5, v11, v10, s[2:3]
	v_lshl_add_u64 v[10:11], v[8:9], 0, 2
	v_cmp_ne_u32_e64 s[2:3], 0, v5
	s_nop 1
	v_cndmask_b32_e64 v5, v13, v11, s[2:3]
	v_cndmask_b32_e64 v11, 0, -1, vcc
	v_cmp_le_u32_e32 vcc, s18, v14
	s_nop 1
	v_cndmask_b32_e64 v13, 0, -1, vcc
	v_cmp_eq_u32_e32 vcc, s19, v1
	s_nop 1
	v_cndmask_b32_e32 v1, v11, v13, vcc
	v_cmp_ne_u32_e32 vcc, 0, v1
	v_cndmask_b32_e64 v1, v12, v10, s[2:3]
	s_nop 0
	v_cndmask_b32_e32 v9, v9, v5, vcc
	v_cndmask_b32_e32 v8, v8, v1, vcc
.LBB0_4:                                ;   in Loop: Header=BB0_2 Depth=1
	s_andn2_saveexec_b64 s[2:3], s[20:21]
	s_cbranch_execz .LBB0_6
; %bb.5:                                ;   in Loop: Header=BB0_2 Depth=1
	v_cvt_f32_u32_e32 v1, s18
	s_sub_i32 s20, 0, s18
	v_rcp_iflag_f32_e32 v1, v1
	s_nop 0
	v_mul_f32_e32 v1, 0x4f7ffffe, v1
	v_cvt_u32_f32_e32 v1, v1
	v_mul_lo_u32 v5, s20, v1
	v_mul_hi_u32 v5, v1, v5
	v_add_u32_e32 v1, v1, v5
	v_mul_hi_u32 v1, v6, v1
	v_mul_lo_u32 v5, v1, s18
	v_sub_u32_e32 v5, v6, v5
	v_add_u32_e32 v8, 1, v1
	v_subrev_u32_e32 v9, s18, v5
	v_cmp_le_u32_e32 vcc, s18, v5
	s_nop 1
	v_cndmask_b32_e32 v5, v5, v9, vcc
	v_cndmask_b32_e32 v1, v1, v8, vcc
	v_add_u32_e32 v8, 1, v1
	v_cmp_le_u32_e32 vcc, s18, v5
	v_mov_b32_e32 v9, v4
	s_nop 0
	v_cndmask_b32_e32 v8, v1, v8, vcc
.LBB0_6:                                ;   in Loop: Header=BB0_2 Depth=1
	s_or_b64 exec, exec, s[2:3]
	v_mad_u64_u32 v[10:11], s[2:3], v8, s18, 0
	s_load_dwordx2 s[2:3], s[12:13], 0x0
	v_mul_lo_u32 v1, v9, s18
	v_mul_lo_u32 v5, v8, s19
	v_add3_u32 v1, v11, v5, v1
	v_sub_co_u32_e32 v5, vcc, v6, v10
	s_add_u32 s14, s14, 1
	s_nop 0
	v_subb_co_u32_e32 v1, vcc, v7, v1, vcc
	s_addc_u32 s15, s15, 0
	s_waitcnt lgkmcnt(0)
	v_mul_lo_u32 v1, s2, v1
	v_mul_lo_u32 v6, s3, v5
	v_mad_u64_u32 v[2:3], s[2:3], s2, v5, v[2:3]
	s_add_u32 s12, s12, 8
	v_add3_u32 v3, v6, v3, v1
	s_addc_u32 s13, s13, 0
	v_mov_b64_e32 v[6:7], s[6:7]
	s_add_u32 s16, s16, 8
	v_cmp_ge_u64_e32 vcc, s[14:15], v[6:7]
	s_addc_u32 s17, s17, 0
	s_cbranch_vccnz .LBB0_9
; %bb.7:                                ;   in Loop: Header=BB0_2 Depth=1
	v_mov_b64_e32 v[6:7], v[8:9]
	s_branch .LBB0_2
.LBB0_8:
	v_mov_b64_e32 v[8:9], v[6:7]
.LBB0_9:
	s_lshl_b64 s[2:3], s[6:7], 3
	s_add_u32 s2, s10, s2
	s_addc_u32 s3, s11, s3
	s_load_dwordx2 s[6:7], s[2:3], 0x0
	s_load_dwordx2 s[10:11], s[0:1], 0x20
	s_mov_b32 s2, 0x4924925
                                        ; implicit-def: $vgpr40
	s_waitcnt lgkmcnt(0)
	v_mul_lo_u32 v1, s6, v9
	v_mul_lo_u32 v4, s7, v8
	v_mad_u64_u32 v[2:3], s[0:1], s6, v8, v[2:3]
	v_add3_u32 v3, v4, v3, v1
	v_mul_hi_u32 v1, v0, s2
	v_mul_u32_u24_e32 v1, 56, v1
	v_cmp_gt_u64_e64 s[0:1], s[10:11], v[8:9]
	v_cmp_le_u64_e32 vcc, s[10:11], v[8:9]
	v_sub_u32_e32 v12, v0, v1
                                        ; implicit-def: $sgpr6_sgpr7
	s_and_saveexec_b64 s[2:3], vcc
	s_xor_b64 s[2:3], exec, s[2:3]
; %bb.10:
	v_or_b32_e32 v40, 0x1c0, v12
	s_mov_b64 s[6:7], 0
; %bb.11:
	s_or_saveexec_b64 s[2:3], s[2:3]
	v_mov_b64_e32 v[36:37], s[6:7]
	v_lshl_add_u64 v[14:15], v[2:3], 3, s[8:9]
	v_mov_b64_e32 v[0:1], s[6:7]
	v_mov_b64_e32 v[2:3], s[6:7]
	;; [unrolled: 1-line block ×8, first 2 shown]
                                        ; implicit-def: $vgpr38
                                        ; implicit-def: $vgpr18
                                        ; implicit-def: $vgpr20
                                        ; implicit-def: $vgpr22
                                        ; implicit-def: $vgpr32
                                        ; implicit-def: $vgpr34
                                        ; implicit-def: $vgpr28
                                        ; implicit-def: $vgpr24
                                        ; implicit-def: $vgpr26
	s_xor_b64 exec, exec, s[2:3]
	s_cbranch_execz .LBB0_13
; %bb.12:
	v_mov_b32_e32 v13, 0
	v_lshl_add_u64 v[40:41], v[12:13], 3, v[14:15]
	v_add_co_u32_e32 v42, vcc, 0x1000, v40
	v_or_b32_e32 v30, 0x380, v12
	s_nop 0
	v_addc_co_u32_e32 v43, vcc, 0, v41, vcc
	global_load_dwordx2 v[26:27], v[42:43], off offset:384
	global_load_dwordx2 v[24:25], v[42:43], off offset:832
	global_load_dwordx2 v[36:37], v[40:41], off
	global_load_dwordx2 v[0:1], v[40:41], off offset:448
	global_load_dwordx2 v[2:3], v[40:41], off offset:896
	;; [unrolled: 1-line block ×11, first 2 shown]
	v_mov_b32_e32 v31, v13
	v_lshl_add_u64 v[44:45], v[30:31], 3, v[14:15]
	global_load_dwordx2 v[38:39], v[40:41], off offset:4032
	global_load_dwordx2 v[30:31], v[40:41], off offset:3584
	global_load_dwordx2 v[32:33], v[44:45], off
	global_load_dwordx2 v[34:35], v[42:43], off offset:3520
	v_or_b32_e32 v40, 0x1c0, v12
.LBB0_13:
	s_or_b64 exec, exec, s[2:3]
	s_waitcnt vmcnt(3)
	v_sub_f32_e32 v39, v37, v39
	v_sub_f32_e32 v43, v36, v38
	v_fma_f32 v38, v37, 2.0, -v39
	v_sub_f32_e32 v37, v0, v26
	v_sub_f32_e32 v51, v8, v22
	;; [unrolled: 1-line block ×3, first 2 shown]
	v_fma_f32 v42, v36, 2.0, -v43
	v_fma_f32 v36, v0, 2.0, -v37
	v_sub_f32_e32 v45, v2, v24
	v_sub_f32_e32 v47, v4, v18
	;; [unrolled: 1-line block ×3, first 2 shown]
	v_fma_f32 v50, v8, 2.0, -v51
	v_fma_f32 v52, v10, 2.0, -v53
	s_waitcnt vmcnt(1)
	v_sub_f32_e32 v55, v16, v32
	s_waitcnt vmcnt(0)
	v_sub_f32_e32 v57, v30, v34
	v_add_u32_e32 v13, 56, v12
	v_add_u32_e32 v68, 0x70, v12
	;; [unrolled: 1-line block ×7, first 2 shown]
	v_lshl_add_u32 v67, v40, 3, 0
	v_lshlrev_b32_e32 v0, 2, v40
	v_fma_f32 v44, v2, 2.0, -v45
	v_fma_f32 v46, v4, 2.0, -v47
	;; [unrolled: 1-line block ×5, first 2 shown]
	v_lshl_add_u32 v2, v12, 3, 0
	v_lshl_add_u32 v41, v13, 3, 0
	;; [unrolled: 1-line block ×9, first 2 shown]
	v_sub_u32_e32 v0, v67, v0
	ds_write_b64 v2, v[42:43]
	ds_write_b64 v41, v[36:37]
	;; [unrolled: 1-line block ×9, first 2 shown]
	s_waitcnt lgkmcnt(0)
	; wave barrier
	s_waitcnt lgkmcnt(0)
	v_add_u32_e32 v69, 0x600, v62
	v_add_u32_e32 v22, 0x800, v62
	;; [unrolled: 1-line block ×6, first 2 shown]
	ds_read_b32 v70, v0
	ds_read_b32 v71, v62 offset:3808
	ds_read2_b32 v[36:37], v62 offset1:56
	ds_read2_b32 v[42:43], v69 offset0:120 offset1:176
	ds_read2_b32 v[44:45], v62 offset0:112 offset1:168
	;; [unrolled: 1-line block ×7, first 2 shown]
	s_waitcnt lgkmcnt(0)
	; wave barrier
	s_waitcnt lgkmcnt(0)
	ds_write_b64 v2, v[38:39]
	v_sub_f32_e32 v39, v3, v25
	v_fma_f32 v38, v3, 2.0, -v39
	v_sub_f32_e32 v3, v5, v19
	v_fma_f32 v2, v5, 2.0, -v3
	v_sub_f32_e32 v5, v7, v21
	v_fma_f32 v4, v7, 2.0, -v5
	v_sub_f32_e32 v7, v9, v23
	v_sub_f32_e32 v27, v1, v27
	v_fma_f32 v6, v9, 2.0, -v7
	v_sub_f32_e32 v33, v17, v33
	v_and_b32_e32 v9, 1, v12
	v_fma_f32 v26, v1, 2.0, -v27
	v_sub_f32_e32 v29, v11, v29
	v_fma_f32 v32, v17, 2.0, -v33
	v_sub_f32_e32 v17, v31, v35
	v_lshlrev_b32_e32 v1, 3, v9
	v_fma_f32 v28, v11, 2.0, -v29
	v_fma_f32 v16, v31, 2.0, -v17
	ds_write_b64 v41, v[26:27]
	ds_write_b64 v58, v[38:39]
	;; [unrolled: 1-line block ×8, first 2 shown]
	s_waitcnt lgkmcnt(0)
	; wave barrier
	s_waitcnt lgkmcnt(0)
	global_load_dwordx2 v[4:5], v1, s[4:5]
	ds_read2_b32 v[6:7], v62 offset1:56
	ds_read2_b32 v[16:17], v69 offset0:120 offset1:176
	ds_read2_b32 v[26:27], v62 offset0:112 offset1:168
	;; [unrolled: 1-line block ×6, first 2 shown]
	ds_read_b32 v11, v62 offset:3808
	v_lshlrev_b32_e32 v3, 1, v12
	s_movk_i32 s2, 0x7c
	v_lshlrev_b32_e32 v2, 1, v13
	v_lshlrev_b32_e32 v1, 1, v68
	;; [unrolled: 1-line block ×4, first 2 shown]
	s_movk_i32 s3, 0x2fc
	v_lshlrev_b32_e32 v61, 1, v63
	v_lshlrev_b32_e32 v63, 1, v65
	;; [unrolled: 1-line block ×3, first 2 shown]
	v_cmp_gt_u32_e32 vcc, 48, v12
	s_waitcnt vmcnt(0)
	v_mul_f32_e32 v21, v42, v5
	s_waitcnt lgkmcnt(6)
	v_mul_f32_e32 v19, v16, v5
	v_fma_f32 v21, v16, v4, -v21
	v_mul_f32_e32 v16, v43, v5
	v_fma_f32 v25, v17, v4, -v16
	v_mul_f32_e32 v16, v46, v5
	s_waitcnt lgkmcnt(4)
	v_fma_f32 v35, v28, v4, -v16
	v_mul_f32_e32 v16, v47, v5
	v_mul_f32_e32 v31, v28, v5
	;; [unrolled: 1-line block ×3, first 2 shown]
	v_fma_f32 v58, v29, v4, -v16
	s_waitcnt lgkmcnt(2)
	v_mul_f32_e32 v29, v38, v5
	v_mul_f32_e32 v16, v50, v5
	v_fmac_f32_e32 v29, v50, v4
	v_fma_f32 v50, v38, v4, -v16
	v_mul_f32_e32 v38, v39, v5
	v_mul_f32_e32 v16, v51, v5
	v_fmac_f32_e32 v38, v51, v4
	v_fma_f32 v51, v39, v4, -v16
	s_waitcnt lgkmcnt(1)
	v_mul_f32_e32 v39, v56, v5
	v_mul_f32_e32 v16, v54, v5
	v_fmac_f32_e32 v19, v42, v4
	v_mul_f32_e32 v23, v17, v5
	v_fmac_f32_e32 v39, v54, v4
	v_fma_f32 v54, v56, v4, -v16
	v_mul_f32_e32 v41, v57, v5
	v_mul_f32_e32 v16, v55, v5
	s_waitcnt lgkmcnt(0)
	v_mul_f32_e32 v42, v11, v5
	v_mul_f32_e32 v5, v71, v5
	v_fmac_f32_e32 v23, v43, v4
	v_fmac_f32_e32 v31, v46, v4
	;; [unrolled: 1-line block ×4, first 2 shown]
	v_fma_f32 v55, v57, v4, -v16
	v_fmac_f32_e32 v42, v71, v4
	v_fma_f32 v11, v11, v4, -v5
	v_sub_f32_e32 v4, v36, v19
	v_and_or_b32 v19, v3, s2, v9
	v_fma_f32 v5, v36, 2.0, -v4
	v_lshl_add_u32 v19, v19, 2, 0
	s_movk_i32 s2, 0xfc
	ds_read2_b32 v[16:17], v34 offset0:80 offset1:136
	ds_read_b32 v56, v0
	s_waitcnt lgkmcnt(0)
	; wave barrier
	s_waitcnt lgkmcnt(0)
	ds_write2_b32 v19, v5, v4 offset1:2
	v_sub_f32_e32 v4, v37, v23
	v_and_or_b32 v23, v2, s2, v9
	v_fma_f32 v5, v37, 2.0, -v4
	v_lshl_add_u32 v23, v23, 2, 0
	v_sub_f32_e32 v28, v45, v28
	s_movk_i32 s2, 0x1fc
	ds_write2_b32 v23, v5, v4 offset1:2
	v_sub_f32_e32 v4, v44, v31
	v_fma_f32 v31, v45, 2.0, -v28
	v_sub_f32_e32 v29, v48, v29
	v_and_or_b32 v45, v1, s2, v9
	v_lshlrev_b32_e32 v57, 1, v20
	v_fma_f32 v5, v44, 2.0, -v4
	v_fma_f32 v36, v48, 2.0, -v29
	v_lshl_add_u32 v48, v45, 2, 0
	v_sub_f32_e32 v37, v49, v38
	ds_write2_b32 v48, v5, v4 offset1:2
	v_and_or_b32 v4, v57, s2, v9
	s_movk_i32 s2, 0x3fc
	v_fma_f32 v38, v49, 2.0, -v37
	v_lshl_add_u32 v49, v4, 2, 0
	v_and_or_b32 v4, v59, s2, v9
	v_sub_f32_e32 v39, v52, v39
	ds_write2_b32 v49, v31, v28 offset1:2
	v_lshl_add_u32 v31, v4, 2, 0
	v_and_or_b32 v4, v60, s3, v9
	v_fma_f32 v40, v52, 2.0, -v39
	v_sub_f32_e32 v41, v53, v41
	v_lshl_add_u32 v52, v4, 2, 0
	v_and_or_b32 v4, v61, s2, v9
	v_fma_f32 v43, v53, 2.0, -v41
	v_lshl_add_u32 v53, v4, 2, 0
	v_and_or_b32 v4, v63, s2, v9
	v_sub_f32_e32 v21, v6, v21
	v_sub_f32_e32 v42, v70, v42
	v_lshl_add_u32 v65, v4, 2, 0
	v_and_or_b32 v4, v64, s2, v9
	v_fma_f32 v44, v70, 2.0, -v42
	v_lshl_add_u32 v9, v4, 2, 0
	v_fma_f32 v6, v6, 2.0, -v21
	ds_write2_b32 v31, v36, v29 offset1:2
	ds_write2_b32 v52, v38, v37 offset1:2
	;; [unrolled: 1-line block ×5, first 2 shown]
	s_waitcnt lgkmcnt(0)
	; wave barrier
	s_waitcnt lgkmcnt(0)
	ds_read2_b32 v[4:5], v62 offset1:56
	ds_read2_b32 v[28:29], v69 offset0:120 offset1:176
	ds_read2_b32 v[36:37], v62 offset0:112 offset1:168
	;; [unrolled: 1-line block ×3, first 2 shown]
	ds_read_b32 v66, v0
	ds_read_b32 v67, v62 offset:3808
	ds_read2_b32 v[40:41], v18 offset0:96 offset1:152
	ds_read2_b32 v[42:43], v24 offset0:88 offset1:144
	;; [unrolled: 1-line block ×4, first 2 shown]
	s_waitcnt lgkmcnt(0)
	; wave barrier
	s_waitcnt lgkmcnt(0)
	ds_write2_b32 v19, v6, v21 offset1:2
	v_sub_f32_e32 v6, v7, v25
	v_fma_f32 v7, v7, 2.0, -v6
	ds_write2_b32 v23, v7, v6 offset1:2
	v_sub_f32_e32 v6, v26, v35
	v_fma_f32 v7, v26, 2.0, -v6
	;; [unrolled: 3-line block ×3, first 2 shown]
	v_sub_f32_e32 v19, v32, v50
	v_sub_f32_e32 v21, v33, v51
	;; [unrolled: 1-line block ×5, first 2 shown]
	v_fma_f32 v23, v32, 2.0, -v19
	v_fma_f32 v25, v33, 2.0, -v21
	;; [unrolled: 1-line block ×5, first 2 shown]
	ds_write2_b32 v49, v7, v6 offset1:2
	ds_write2_b32 v31, v23, v19 offset1:2
	;; [unrolled: 1-line block ×6, first 2 shown]
	v_and_b32_e32 v9, 3, v12
	v_lshlrev_b32_e32 v6, 3, v9
	s_waitcnt lgkmcnt(0)
	; wave barrier
	s_waitcnt lgkmcnt(0)
	global_load_dwordx2 v[6:7], v6, s[4:5] offset:16
	ds_read2_b32 v[16:17], v62 offset1:56
	ds_read2_b32 v[26:27], v69 offset0:120 offset1:176
	ds_read2_b32 v[32:33], v22 offset0:104 offset1:160
	;; [unrolled: 1-line block ×4, first 2 shown]
	ds_read_b32 v11, v62 offset:3808
	s_movk_i32 s2, 0x78
	s_movk_i32 s3, 0x2f8
	s_waitcnt vmcnt(0)
	v_mul_f32_e32 v21, v28, v7
	s_waitcnt lgkmcnt(4)
	v_mul_f32_e32 v19, v26, v7
	v_fma_f32 v21, v26, v6, -v21
	v_mul_f32_e32 v26, v38, v7
	s_waitcnt lgkmcnt(3)
	v_mul_f32_e32 v31, v32, v7
	v_fma_f32 v35, v32, v6, -v26
	v_mul_f32_e32 v32, v33, v7
	v_fmac_f32_e32 v19, v28, v6
	v_fmac_f32_e32 v32, v39, v6
	v_mul_f32_e32 v26, v39, v7
	s_waitcnt lgkmcnt(1)
	v_mul_f32_e32 v39, v50, v7
	v_mul_f32_e32 v23, v27, v7
	v_fmac_f32_e32 v31, v38, v6
	v_fma_f32 v52, v33, v6, -v26
	v_mul_f32_e32 v33, v48, v7
	v_mul_f32_e32 v26, v42, v7
	;; [unrolled: 1-line block ×3, first 2 shown]
	v_fmac_f32_e32 v39, v46, v6
	v_mul_f32_e32 v28, v46, v7
	v_sub_f32_e32 v19, v4, v19
	v_and_or_b32 v46, v3, s2, v9
	v_fmac_f32_e32 v23, v29, v6
	v_mul_f32_e32 v25, v29, v7
	v_fmac_f32_e32 v33, v42, v6
	v_fma_f32 v48, v48, v6, -v26
	v_fmac_f32_e32 v38, v43, v6
	v_mul_f32_e32 v26, v43, v7
	v_mul_f32_e32 v42, v51, v7
	;; [unrolled: 1-line block ×3, first 2 shown]
	s_waitcnt lgkmcnt(0)
	v_mul_f32_e32 v43, v11, v7
	v_mul_f32_e32 v7, v67, v7
	v_lshl_add_u32 v54, v46, 2, 0
	v_fma_f32 v4, v4, 2.0, -v19
	s_movk_i32 s2, 0xf8
	v_fma_f32 v25, v27, v6, -v25
	v_fma_f32 v49, v49, v6, -v26
	v_fmac_f32_e32 v42, v47, v6
	ds_read2_b32 v[26:27], v62 offset0:112 offset1:168
	v_fma_f32 v50, v50, v6, -v28
	v_fma_f32 v51, v51, v6, -v29
	v_fmac_f32_e32 v43, v67, v6
	v_fma_f32 v11, v11, v6, -v7
	ds_read2_b32 v[6:7], v18 offset0:96 offset1:152
	ds_read2_b32 v[28:29], v34 offset0:80 offset1:136
	ds_read_b32 v53, v0
	s_waitcnt lgkmcnt(0)
	; wave barrier
	s_waitcnt lgkmcnt(0)
	ds_write2_b32 v54, v4, v19 offset1:4
	v_sub_f32_e32 v4, v5, v23
	v_and_or_b32 v19, v2, s2, v9
	v_fma_f32 v5, v5, 2.0, -v4
	v_lshl_add_u32 v19, v19, 2, 0
	ds_write2_b32 v19, v5, v4 offset1:4
	v_sub_f32_e32 v4, v36, v31
	v_fma_f32 v5, v36, 2.0, -v4
	v_sub_f32_e32 v36, v41, v38
	v_sub_f32_e32 v38, v44, v39
	s_movk_i32 s2, 0x1f8
	v_fma_f32 v39, v44, 2.0, -v38
	v_and_or_b32 v44, v1, s2, v9
	v_lshl_add_u32 v55, v44, 2, 0
	v_sub_f32_e32 v23, v37, v32
	ds_write2_b32 v55, v5, v4 offset1:4
	v_and_or_b32 v4, v57, s2, v9
	s_movk_i32 s2, 0x3f8
	v_fma_f32 v31, v37, 2.0, -v23
	v_lshl_add_u32 v56, v4, 2, 0
	v_and_or_b32 v4, v59, s2, v9
	ds_write2_b32 v56, v31, v23 offset1:4
	v_lshl_add_u32 v23, v4, 2, 0
	v_and_or_b32 v4, v60, s3, v9
	v_lshl_add_u32 v31, v4, 2, 0
	v_and_or_b32 v4, v61, s2, v9
	v_sub_f32_e32 v32, v40, v33
	v_lshl_add_u32 v58, v4, 2, 0
	v_and_or_b32 v4, v63, s2, v9
	v_sub_f32_e32 v21, v16, v21
	v_fma_f32 v33, v40, 2.0, -v32
	v_sub_f32_e32 v40, v45, v42
	v_sub_f32_e32 v42, v66, v43
	v_lshl_add_u32 v65, v4, 2, 0
	v_and_or_b32 v4, v64, s2, v9
	v_fma_f32 v37, v41, 2.0, -v36
	v_fma_f32 v41, v45, 2.0, -v40
	;; [unrolled: 1-line block ×3, first 2 shown]
	v_lshl_add_u32 v9, v4, 2, 0
	v_fma_f32 v16, v16, 2.0, -v21
	ds_write2_b32 v23, v33, v32 offset1:4
	ds_write2_b32 v31, v37, v36 offset1:4
	;; [unrolled: 1-line block ×5, first 2 shown]
	s_waitcnt lgkmcnt(0)
	; wave barrier
	s_waitcnt lgkmcnt(0)
	ds_read2_b32 v[4:5], v62 offset1:56
	ds_read2_b32 v[32:33], v69 offset0:120 offset1:176
	ds_read2_b32 v[36:37], v62 offset0:112 offset1:168
	;; [unrolled: 1-line block ×3, first 2 shown]
	ds_read_b32 v66, v0
	ds_read_b32 v67, v62 offset:3808
	ds_read2_b32 v[40:41], v18 offset0:96 offset1:152
	ds_read2_b32 v[42:43], v24 offset0:88 offset1:144
	;; [unrolled: 1-line block ×4, first 2 shown]
	s_waitcnt lgkmcnt(0)
	; wave barrier
	s_waitcnt lgkmcnt(0)
	ds_write2_b32 v54, v16, v21 offset1:4
	v_sub_f32_e32 v16, v17, v25
	v_fma_f32 v17, v17, 2.0, -v16
	ds_write2_b32 v19, v17, v16 offset1:4
	v_sub_f32_e32 v16, v26, v35
	v_fma_f32 v17, v26, 2.0, -v16
	;; [unrolled: 3-line block ×3, first 2 shown]
	v_sub_f32_e32 v19, v6, v48
	v_sub_f32_e32 v21, v7, v49
	;; [unrolled: 1-line block ×5, first 2 shown]
	v_fma_f32 v6, v6, 2.0, -v19
	v_fma_f32 v7, v7, 2.0, -v21
	;; [unrolled: 1-line block ×5, first 2 shown]
	ds_write2_b32 v56, v17, v16 offset1:4
	ds_write2_b32 v23, v6, v19 offset1:4
	;; [unrolled: 1-line block ×6, first 2 shown]
	v_and_b32_e32 v9, 7, v12
	v_lshlrev_b32_e32 v6, 3, v9
	s_waitcnt lgkmcnt(0)
	; wave barrier
	s_waitcnt lgkmcnt(0)
	global_load_dwordx2 v[6:7], v6, s[4:5] offset:48
	ds_read2_b32 v[16:17], v62 offset1:56
	ds_read2_b32 v[26:27], v69 offset0:120 offset1:176
	ds_read2_b32 v[28:29], v62 offset0:112 offset1:168
	;; [unrolled: 1-line block ×5, first 2 shown]
	ds_read_b32 v11, v62 offset:3808
	s_movk_i32 s2, 0x70
	s_movk_i32 s3, 0x2f0
	s_waitcnt vmcnt(0)
	v_mul_f32_e32 v21, v32, v7
	s_waitcnt lgkmcnt(5)
	v_mul_f32_e32 v19, v26, v7
	v_fma_f32 v21, v26, v6, -v21
	v_mul_f32_e32 v26, v38, v7
	v_fmac_f32_e32 v19, v32, v6
	v_mul_f32_e32 v23, v27, v7
	s_waitcnt lgkmcnt(3)
	v_mul_f32_e32 v31, v48, v7
	v_fma_f32 v32, v48, v6, -v26
	v_mul_f32_e32 v26, v39, v7
	v_fmac_f32_e32 v23, v33, v6
	v_mul_f32_e32 v25, v33, v7
	v_fmac_f32_e32 v31, v38, v6
	v_mul_f32_e32 v33, v49, v7
	v_fma_f32 v35, v49, v6, -v26
	s_waitcnt lgkmcnt(2)
	v_mul_f32_e32 v38, v50, v7
	v_mul_f32_e32 v26, v42, v7
	v_fmac_f32_e32 v33, v39, v6
	v_fmac_f32_e32 v38, v42, v6
	v_fma_f32 v39, v50, v6, -v26
	v_mul_f32_e32 v42, v51, v7
	v_mul_f32_e32 v26, v43, v7
	v_fmac_f32_e32 v42, v43, v6
	v_fma_f32 v43, v51, v6, -v26
	s_waitcnt lgkmcnt(1)
	v_mul_f32_e32 v48, v52, v7
	v_mul_f32_e32 v26, v46, v7
	v_fmac_f32_e32 v48, v46, v6
	v_fma_f32 v46, v52, v6, -v26
	v_mul_f32_e32 v49, v53, v7
	v_mul_f32_e32 v26, v47, v7
	s_waitcnt lgkmcnt(0)
	v_mul_f32_e32 v50, v11, v7
	v_mul_f32_e32 v7, v67, v7
	v_fma_f32 v25, v27, v6, -v25
	v_fmac_f32_e32 v49, v47, v6
	v_fma_f32 v47, v53, v6, -v26
	ds_read2_b32 v[26:27], v18 offset0:96 offset1:152
	v_fmac_f32_e32 v50, v67, v6
	v_fma_f32 v11, v11, v6, -v7
	ds_read2_b32 v[6:7], v34 offset0:80 offset1:136
	ds_read_b32 v0, v0
	v_sub_f32_e32 v21, v16, v21
	v_fma_f32 v51, v16, 2.0, -v21
	v_sub_f32_e32 v25, v17, v25
	v_sub_f32_e32 v16, v36, v31
	;; [unrolled: 1-line block ×4, first 2 shown]
	v_fma_f32 v52, v17, 2.0, -v25
	v_fma_f32 v17, v36, 2.0, -v16
	;; [unrolled: 1-line block ×3, first 2 shown]
	v_sub_f32_e32 v36, v40, v38
	s_waitcnt lgkmcnt(2)
	v_sub_f32_e32 v37, v26, v39
	v_sub_f32_e32 v39, v41, v42
	s_waitcnt lgkmcnt(1)
	v_sub_f32_e32 v46, v6, v46
	s_waitcnt lgkmcnt(0)
	v_sub_f32_e32 v11, v0, v11
	v_sub_f32_e32 v19, v4, v19
	v_fma_f32 v38, v40, 2.0, -v36
	v_fma_f32 v40, v41, 2.0, -v39
	v_sub_f32_e32 v41, v44, v48
	v_fma_f32 v48, v6, 2.0, -v46
	v_sub_f32_e32 v6, v66, v50
	v_fma_f32 v50, v0, 2.0, -v11
	v_and_or_b32 v0, v3, s2, v9
	s_movk_i32 s2, 0xf0
	v_fma_f32 v4, v4, 2.0, -v19
	v_sub_f32_e32 v23, v5, v23
	v_lshl_add_u32 v54, v0, 2, 0
	v_and_or_b32 v0, v2, s2, v9
	s_movk_i32 s2, 0x1f0
	v_fma_f32 v5, v5, 2.0, -v23
	s_waitcnt lgkmcnt(0)
	; wave barrier
	ds_write2_b32 v54, v4, v19 offset1:8
	v_lshl_add_u32 v19, v0, 2, 0
	v_and_or_b32 v0, v1, s2, v9
	ds_write2_b32 v19, v5, v23 offset1:8
	v_lshl_add_u32 v23, v0, 2, 0
	v_and_or_b32 v0, v57, s2, v9
	s_movk_i32 s2, 0x3f0
	v_lshl_add_u32 v55, v0, 2, 0
	v_and_or_b32 v0, v59, s2, v9
	v_lshl_add_u32 v56, v0, 2, 0
	v_and_or_b32 v0, v60, s3, v9
	ds_write2_b32 v23, v17, v16 offset1:8
	ds_write2_b32 v55, v33, v32 offset1:8
	;; [unrolled: 1-line block ×3, first 2 shown]
	v_lshl_add_u32 v36, v0, 2, 0
	v_and_or_b32 v0, v61, s2, v9
	v_lshl_add_u32 v38, v0, 2, 0
	v_and_or_b32 v0, v63, s2, v9
	v_sub_f32_e32 v53, v27, v43
	v_sub_f32_e32 v43, v45, v49
	;; [unrolled: 1-line block ×3, first 2 shown]
	ds_write2_b32 v36, v40, v39 offset1:8
	v_lshl_add_u32 v39, v0, 2, 0
	v_and_or_b32 v0, v64, s2, v9
	v_sub_f32_e32 v35, v29, v35
	v_fma_f32 v42, v44, 2.0, -v41
	v_fma_f32 v44, v45, 2.0, -v43
	;; [unrolled: 1-line block ×4, first 2 shown]
	v_lshl_add_u32 v9, v0, 2, 0
	v_fma_f32 v28, v28, 2.0, -v31
	v_fma_f32 v29, v29, 2.0, -v35
	;; [unrolled: 1-line block ×4, first 2 shown]
	ds_write2_b32 v38, v42, v41 offset1:8
	ds_write2_b32 v39, v44, v43 offset1:8
	;; [unrolled: 1-line block ×3, first 2 shown]
	s_waitcnt lgkmcnt(0)
	; wave barrier
	s_waitcnt lgkmcnt(0)
	ds_read2_b32 v[4:5], v62 offset1:56
	ds_read2_b32 v[6:7], v34 offset0:80 offset1:136
	ds_read2_b32 v[16:17], v22 offset0:160 offset1:216
	ds_read2_b32 v[2:3], v62 offset0:112 offset1:168
	ds_read2_b32 v[32:33], v34 offset0:192 offset1:248
	ds_read2_b32 v[40:41], v30 offset0:16 offset1:72
	ds_read2_b32 v[0:1], v18 offset0:96 offset1:152
	ds_read2_b32 v[42:43], v22 offset0:48 offset1:104
	ds_read2_b32 v[44:45], v30 offset0:128 offset1:184
	s_waitcnt lgkmcnt(0)
	; wave barrier
	s_waitcnt lgkmcnt(0)
	ds_write2_b32 v54, v51, v21 offset1:8
	ds_write2_b32 v19, v52, v25 offset1:8
	;; [unrolled: 1-line block ×9, first 2 shown]
	v_and_b32_e32 v9, 15, v12
	v_lshlrev_b32_e32 v11, 4, v9
	v_and_b32_e32 v19, 15, v20
	s_waitcnt lgkmcnt(0)
	; wave barrier
	s_waitcnt lgkmcnt(0)
	global_load_dwordx4 v[26:29], v11, s[4:5] offset:112
	v_lshlrev_b32_e32 v11, 4, v19
	global_load_dwordx4 v[36:39], v11, s[4:5] offset:112
	v_and_b32_e32 v23, 15, v8
	v_and_b32_e32 v11, 15, v13
	v_lshlrev_b32_e32 v25, 4, v23
	v_lshlrev_b32_e32 v21, 4, v11
	global_load_dwordx2 v[46:47], v25, s[4:5] offset:112
	global_load_dword v31, v21, s[4:5] offset:112
	global_load_dwordx2 v[48:49], v25, s[4:5] offset:120
	global_load_dwordx2 v[50:51], v25, s[4:5] offset:116
	global_load_dword v35, v25, s[4:5] offset:124
	ds_read2_b32 v[52:53], v34 offset0:80 offset1:136
	ds_read2_b32 v[54:55], v22 offset0:160 offset1:216
	;; [unrolled: 1-line block ×6, first 2 shown]
	s_movk_i32 s2, 0xab
	s_waitcnt vmcnt(6) lgkmcnt(5)
	v_mul_f32_e32 v21, v52, v27
	v_fmac_f32_e32 v21, v6, v26
	s_waitcnt vmcnt(5) lgkmcnt(3)
	v_mul_f32_e32 v25, v57, v37
	v_fmac_f32_e32 v25, v33, v36
	v_mul_f32_e32 v33, v33, v37
	s_waitcnt lgkmcnt(2)
	v_mul_f32_e32 v37, v59, v39
	v_fma_f32 v36, v57, v36, -v33
	v_fmac_f32_e32 v37, v41, v38
	v_mul_f32_e32 v33, v41, v39
	v_mul_f32_e32 v41, v56, v27
	;; [unrolled: 1-line block ×4, first 2 shown]
	v_fmac_f32_e32 v41, v32, v26
	v_mul_f32_e32 v32, v32, v27
	v_fma_f32 v6, v52, v26, -v6
	v_fmac_f32_e32 v39, v16, v28
	v_mul_f32_e32 v16, v16, v29
	v_fma_f32 v52, v56, v26, -v32
	s_waitcnt lgkmcnt(1)
	v_mul_f32_e32 v56, v60, v27
	v_mul_f32_e32 v27, v42, v27
	v_fma_f32 v16, v54, v28, -v16
	v_mul_f32_e32 v54, v58, v29
	v_mul_f32_e32 v32, v40, v29
	v_fmac_f32_e32 v56, v42, v26
	v_fma_f32 v42, v60, v26, -v27
	s_waitcnt lgkmcnt(0)
	v_mul_f32_e32 v57, v64, v29
	v_mul_f32_e32 v26, v44, v29
	v_fmac_f32_e32 v54, v40, v28
	v_fma_f32 v40, v58, v28, -v32
	v_fmac_f32_e32 v57, v44, v28
	v_fma_f32 v44, v64, v28, -v26
	s_waitcnt vmcnt(4)
	v_mul_f32_e32 v58, v53, v47
	ds_read2_b32 v[26:27], v62 offset1:56
	s_waitcnt vmcnt(3)
	v_fmac_f32_e32 v58, v7, v31
	v_mul_f32_e32 v7, v7, v47
	s_waitcnt vmcnt(1)
	v_mul_f32_e32 v47, v61, v50
	v_mul_f32_e32 v32, v43, v50
	v_fmac_f32_e32 v47, v43, v46
	v_fma_f32 v43, v61, v46, -v32
	s_waitcnt vmcnt(0)
	v_mul_f32_e32 v46, v65, v35
	v_mul_f32_e32 v35, v45, v35
	v_fmac_f32_e32 v46, v45, v48
	v_fma_f32 v35, v65, v48, -v35
	v_add_f32_e32 v48, v21, v39
	v_fma_f32 v7, v53, v31, -v7
	v_mul_f32_e32 v31, v55, v49
	v_add_f32_e32 v45, v4, v21
	v_fma_f32 v4, -0.5, v48, v4
	v_sub_f32_e32 v48, v6, v16
	v_fmac_f32_e32 v31, v17, v51
	v_mul_f32_e32 v17, v17, v49
	v_fmamk_f32 v49, v48, 0xbf5db3d7, v4
	v_fmac_f32_e32 v4, 0x3f5db3d7, v48
	s_waitcnt lgkmcnt(0)
	v_add_f32_e32 v48, v26, v6
	v_add_f32_e32 v6, v6, v16
	v_fma_f32 v17, v55, v51, -v17
	ds_read2_b32 v[28:29], v62 offset0:112 offset1:168
	v_add_f32_e32 v48, v48, v16
	v_fma_f32 v26, -0.5, v6, v26
	v_sub_f32_e32 v6, v21, v39
	v_add_f32_e32 v16, v58, v31
	v_fmamk_f32 v21, v6, 0x3f5db3d7, v26
	v_fmac_f32_e32 v26, 0xbf5db3d7, v6
	v_add_f32_e32 v6, v5, v58
	v_fmac_f32_e32 v5, -0.5, v16
	v_sub_f32_e32 v16, v7, v17
	v_add_f32_e32 v45, v45, v39
	v_fmamk_f32 v39, v16, 0xbf5db3d7, v5
	v_fmac_f32_e32 v5, 0x3f5db3d7, v16
	v_add_f32_e32 v16, v27, v7
	v_add_f32_e32 v7, v7, v17
	;; [unrolled: 1-line block ×3, first 2 shown]
	v_fmac_f32_e32 v27, -0.5, v7
	v_sub_f32_e32 v7, v58, v31
	v_add_f32_e32 v16, v41, v54
	v_add_f32_e32 v6, v6, v31
	v_fmamk_f32 v31, v7, 0x3f5db3d7, v27
	v_fmac_f32_e32 v27, 0xbf5db3d7, v7
	v_add_f32_e32 v7, v2, v41
	v_fma_f32 v2, -0.5, v16, v2
	v_sub_f32_e32 v16, v52, v40
	v_fmamk_f32 v17, v16, 0xbf5db3d7, v2
	v_fmac_f32_e32 v2, 0x3f5db3d7, v16
	s_waitcnt lgkmcnt(0)
	v_add_f32_e32 v16, v28, v52
	v_add_f32_e32 v60, v16, v40
	;; [unrolled: 1-line block ×3, first 2 shown]
	v_fma_f32 v38, v59, v38, -v33
	v_fma_f32 v28, -0.5, v16, v28
	v_sub_f32_e32 v16, v41, v54
	v_add_f32_e32 v41, v25, v37
	ds_read2_b32 v[32:33], v18 offset0:96 offset1:152
	v_fmamk_f32 v40, v16, 0x3f5db3d7, v28
	v_fmac_f32_e32 v28, 0xbf5db3d7, v16
	v_add_f32_e32 v16, v3, v25
	v_fmac_f32_e32 v3, -0.5, v41
	v_sub_f32_e32 v41, v36, v38
	v_fmamk_f32 v50, v41, 0xbf5db3d7, v3
	v_fmac_f32_e32 v3, 0x3f5db3d7, v41
	v_add_f32_e32 v41, v29, v36
	v_add_f32_e32 v36, v36, v38
	v_fmac_f32_e32 v29, -0.5, v36
	v_sub_f32_e32 v25, v25, v37
	v_fmamk_f32 v36, v25, 0x3f5db3d7, v29
	v_fmac_f32_e32 v29, 0xbf5db3d7, v25
	v_add_f32_e32 v25, v56, v57
	v_add_f32_e32 v16, v16, v37
	v_fma_f32 v25, -0.5, v25, v0
	v_sub_f32_e32 v37, v42, v44
	v_add_f32_e32 v41, v41, v38
	v_fmamk_f32 v38, v37, 0xbf5db3d7, v25
	v_fmac_f32_e32 v25, 0x3f5db3d7, v37
	s_waitcnt lgkmcnt(0)
	v_add_f32_e32 v37, v32, v42
	v_add_f32_e32 v42, v42, v44
	v_fma_f32 v32, -0.5, v42, v32
	v_sub_f32_e32 v42, v56, v57
	v_add_f32_e32 v51, v47, v46
	v_add_f32_e32 v37, v37, v44
	v_fmamk_f32 v44, v42, 0x3f5db3d7, v32
	v_fmac_f32_e32 v32, 0xbf5db3d7, v42
	v_add_f32_e32 v42, v1, v47
	v_fmac_f32_e32 v1, -0.5, v51
	v_sub_f32_e32 v51, v43, v35
	v_fmamk_f32 v52, v51, 0xbf5db3d7, v1
	v_fmac_f32_e32 v1, 0x3f5db3d7, v51
	v_add_f32_e32 v51, v33, v43
	v_add_f32_e32 v7, v7, v54
	;; [unrolled: 1-line block ×4, first 2 shown]
	v_fmac_f32_e32 v33, -0.5, v35
	v_add_f32_e32 v35, v42, v46
	v_sub_f32_e32 v42, v47, v46
	v_fmamk_f32 v43, v42, 0x3f5db3d7, v33
	v_fmac_f32_e32 v33, 0xbf5db3d7, v42
	v_lshrrev_b32_e32 v42, 4, v12
	v_mul_u32_u24_e32 v42, 48, v42
	v_or_b32_e32 v42, v42, v9
	v_lshl_add_u32 v42, v42, 2, 0
	s_waitcnt lgkmcnt(0)
	; wave barrier
	ds_write2_b32 v42, v45, v49 offset1:16
	ds_write_b32 v42, v4 offset:128
	v_lshrrev_b32_e32 v4, 4, v13
	v_mul_u32_u24_e32 v4, 48, v4
	v_or_b32_e32 v4, v4, v11
	v_lshl_add_u32 v11, v4, 2, 0
	v_lshrrev_b32_e32 v4, 4, v68
	v_mul_u32_u24_e32 v4, 48, v4
	v_or_b32_e32 v4, v4, v9
	ds_write2_b32 v11, v6, v39 offset1:16
	ds_write_b32 v11, v5 offset:128
	v_lshl_add_u32 v39, v4, 2, 0
	ds_write2_b32 v39, v7, v17 offset1:16
	ds_write_b32 v39, v2 offset:128
	v_lshrrev_b32_e32 v2, 4, v20
	v_mul_u32_u24_e32 v2, 48, v2
	v_or_b32_e32 v2, v2, v19
	v_lshl_add_u32 v19, v2, 2, 0
	v_lshrrev_b32_e32 v2, 4, v10
	v_mul_u32_u24_e32 v2, 48, v2
	v_add_f32_e32 v0, v0, v56
	v_or_b32_e32 v2, v2, v9
	v_add_f32_e32 v0, v0, v57
	v_lshl_add_u32 v9, v2, 2, 0
	ds_write2_b32 v19, v16, v50 offset1:16
	ds_write_b32 v19, v3 offset:128
	ds_write2_b32 v9, v0, v38 offset1:16
	ds_write_b32 v9, v25 offset:128
	v_lshrrev_b32_e32 v0, 4, v8
	v_mul_u32_u24_e32 v0, 48, v0
	v_or_b32_e32 v0, v0, v23
	v_lshl_add_u32 v23, v0, 2, 0
	ds_write2_b32 v23, v35, v52 offset1:16
	ds_write_b32 v23, v1 offset:128
	s_waitcnt lgkmcnt(0)
	; wave barrier
	s_waitcnt lgkmcnt(0)
	ds_read2_b32 v[2:3], v62 offset1:56
	ds_read2_b32 v[50:51], v34 offset0:80 offset1:136
	ds_read2_b32 v[52:53], v22 offset0:160 offset1:216
	;; [unrolled: 1-line block ×8, first 2 shown]
	s_waitcnt lgkmcnt(0)
	; wave barrier
	s_waitcnt lgkmcnt(0)
	ds_write2_b32 v42, v48, v21 offset1:16
	ds_write_b32 v42, v26 offset:128
	ds_write2_b32 v11, v55, v31 offset1:16
	ds_write_b32 v11, v27 offset:128
	;; [unrolled: 2-line block ×6, first 2 shown]
	v_subrev_u32_e32 v9, 48, v12
	v_cndmask_b32_e32 v19, v9, v12, vcc
	v_lshlrev_b32_e32 v26, 1, v19
	v_mov_b32_e32 v27, 0
	v_lshl_add_u64 v[26:27], v[26:27], 3, s[4:5]
	s_waitcnt lgkmcnt(0)
	; wave barrier
	s_waitcnt lgkmcnt(0)
	global_load_dwordx4 v[26:29], v[26:27], off offset:368
	ds_read2_b32 v[32:33], v34 offset0:80 offset1:136
	ds_read2_b32 v[54:55], v22 offset0:160 offset1:216
	v_mul_lo_u16_sdwa v9, v13, s2 dst_sel:DWORD dst_unused:UNUSED_PAD src0_sel:BYTE_0 src1_sel:DWORD
	v_lshrrev_b16_e32 v23, 13, v9
	v_mul_lo_u16_e32 v9, 48, v23
	v_sub_u16_e32 v25, v13, v9
	v_mov_b32_e32 v11, 4
	v_lshlrev_b32_sdwa v9, v11, v25 dst_sel:DWORD dst_unused:UNUSED_PAD src0_sel:DWORD src1_sel:BYTE_0
	global_load_dwordx4 v[36:39], v9, s[4:5] offset:368
	v_cmp_lt_u32_e32 vcc, 47, v12
	v_lshlrev_b32_e32 v19, 2, v19
	s_waitcnt vmcnt(1)
	v_mul_f32_e32 v21, v50, v27
	s_waitcnt lgkmcnt(1)
	v_fma_f32 v35, v32, v26, -v21
	v_mul_lo_u16_sdwa v21, v68, s2 dst_sel:DWORD dst_unused:UNUSED_PAD src0_sel:BYTE_0 src1_sel:DWORD
	v_lshrrev_b16_e32 v69, 13, v21
	v_mul_lo_u16_e32 v21, 48, v69
	v_sub_u16_e32 v72, v68, v21
	v_lshlrev_b32_sdwa v21, v11, v72 dst_sel:DWORD dst_unused:UNUSED_PAD src0_sel:DWORD src1_sel:BYTE_0
	global_load_dwordx4 v[40:43], v21, s[4:5] offset:368
	v_mul_f32_e32 v9, v32, v27
	v_fmac_f32_e32 v9, v50, v26
	v_mul_lo_u16_sdwa v26, v20, s2 dst_sel:DWORD dst_unused:UNUSED_PAD src0_sel:BYTE_0 src1_sel:DWORD
	v_lshrrev_b16_e32 v73, 13, v26
	v_mul_lo_u16_e32 v26, 48, v73
	v_sub_u16_e32 v74, v20, v26
	v_lshlrev_b32_sdwa v11, v11, v74 dst_sel:DWORD dst_unused:UNUSED_PAD src0_sel:DWORD src1_sel:BYTE_0
	s_mov_b32 s2, 0xaaab
	global_load_dwordx4 v[44:47], v11, s[4:5] offset:368
	v_mul_u32_u24_sdwa v11, v10, s2 dst_sel:DWORD dst_unused:UNUSED_PAD src0_sel:WORD_0 src1_sel:DWORD
	v_lshrrev_b32_e32 v75, 21, v11
	v_mul_lo_u16_e32 v11, 48, v75
	v_sub_u16_e32 v76, v10, v11
	v_mul_u32_u24_sdwa v11, v8, s2 dst_sel:DWORD dst_unused:UNUSED_PAD src0_sel:WORD_0 src1_sel:DWORD
	s_waitcnt lgkmcnt(0)
	v_mul_f32_e32 v31, v54, v29
	v_mul_f32_e32 v21, v52, v29
	v_lshlrev_b32_e32 v10, 4, v76
	v_lshrrev_b32_e32 v77, 21, v11
	v_fmac_f32_e32 v31, v52, v28
	v_fma_f32 v48, v54, v28, -v21
	global_load_dwordx4 v[26:29], v10, s[4:5] offset:368
	v_mul_lo_u16_e32 v10, 48, v77
	v_sub_u16_e32 v78, v8, v10
	v_lshlrev_b32_e32 v8, 4, v78
	global_load_dwordx4 v[64:67], v8, s[4:5] offset:368
	ds_read2_b32 v[10:11], v34 offset0:192 offset1:248
	ds_read2_b32 v[20:21], v30 offset0:16 offset1:72
	s_waitcnt vmcnt(4)
	v_mul_f32_e32 v8, v51, v37
	v_fma_f32 v54, v33, v36, -v8
	v_mul_f32_e32 v8, v53, v39
	v_fma_f32 v60, v55, v38, -v8
	v_mul_f32_e32 v49, v33, v37
	v_fmac_f32_e32 v49, v51, v36
	ds_read2_b32 v[32:33], v30 offset0:128 offset1:184
	v_mul_f32_e32 v52, v55, v39
	v_fmac_f32_e32 v52, v53, v38
	v_cmp_lt_u32_e64 s[2:3], 31, v12
	s_waitcnt vmcnt(3)
	v_mul_f32_e32 v8, v58, v41
	s_waitcnt lgkmcnt(2)
	v_fma_f32 v57, v10, v40, -v8
	v_mul_f32_e32 v8, v70, v43
	v_mul_f32_e32 v51, v10, v41
	s_waitcnt lgkmcnt(1)
	v_fma_f32 v61, v20, v42, -v8
	v_fmac_f32_e32 v51, v58, v40
	v_mul_f32_e32 v55, v20, v43
	v_fmac_f32_e32 v55, v70, v42
	s_waitcnt vmcnt(2)
	v_mul_f32_e32 v8, v59, v45
	v_mul_f32_e32 v50, v11, v45
	v_fma_f32 v58, v11, v44, -v8
	ds_read2_b32 v[10:11], v22 offset0:48 offset1:104
	v_mul_f32_e32 v8, v71, v47
	v_mul_f32_e32 v53, v21, v47
	v_fma_f32 v63, v21, v46, -v8
	v_fmac_f32_e32 v50, v59, v44
	v_fmac_f32_e32 v53, v71, v46
	s_waitcnt vmcnt(1) lgkmcnt(0)
	v_mul_f32_e32 v56, v10, v27
	v_fmac_f32_e32 v56, v6, v26
	v_mul_f32_e32 v59, v32, v29
	v_mul_f32_e32 v6, v6, v27
	s_waitcnt vmcnt(0)
	v_mul_f32_e32 v21, v33, v67
	v_fmac_f32_e32 v21, v5, v66
	v_mov_b32_e32 v37, v66
	v_mov_b32_e32 v66, v29
	v_mul_f32_e32 v27, v11, v65
	v_fmac_f32_e32 v59, v4, v28
	v_mov_b32_e32 v36, v28
	v_fma_f32 v8, v10, v26, -v6
	v_mul_f32_e32 v26, v11, v64
	v_fmac_f32_e32 v27, v7, v64
	v_mul_f32_e32 v20, v7, v65
	v_pk_mul_f32 v[4:5], v[4:5], v[66:67]
	v_add_f32_e32 v29, v17, v27
	v_pk_fma_f32 v[10:11], v[32:33], v[36:37], v[4:5] neg_lo:[0,0,1] neg_hi:[0,0,1]
	v_add_f32_e32 v28, v27, v21
	v_pk_add_f32 v[26:27], v[26:27], v[20:21] neg_lo:[0,1] neg_hi:[0,1]
	v_fmac_f32_e32 v17, -0.5, v28
	v_sub_f32_e32 v32, v26, v11
	v_mul_f32_e32 v20, 0x3f5db3d7, v32
	v_mov_b32_e32 v28, v17
	v_pk_add_f32 v[20:21], v[28:29], v[20:21]
	v_add_f32_e32 v28, v2, v9
	v_add_f32_e32 v33, v28, v31
	v_mov_b32_e32 v28, 0x240
	v_cndmask_b32_e32 v28, 0, v28, vcc
	v_add3_u32 v64, 0, v28, v19
	v_add_f32_e32 v19, v9, v31
	v_fma_f32 v2, -0.5, v19, v2
	ds_read2_b32 v[28:29], v18 offset0:96 offset1:152
	v_sub_f32_e32 v18, v35, v48
	v_fmamk_f32 v19, v18, 0xbf5db3d7, v2
	ds_read2_b32 v[6:7], v62 offset1:56
	ds_read2_b32 v[4:5], v62 offset0:112 offset1:168
	s_waitcnt lgkmcnt(0)
	; wave barrier
	s_waitcnt lgkmcnt(0)
	ds_write2_b32 v64, v33, v19 offset1:48
	v_add_f32_e32 v19, v49, v52
	v_fmac_f32_e32 v2, 0x3f5db3d7, v18
	v_add_f32_e32 v18, v3, v49
	v_fmac_f32_e32 v3, -0.5, v19
	v_mov_b32_e32 v19, 2
	ds_write_b32 v64, v2 offset:384
	v_mul_u32_u24_e32 v2, 0x240, v23
	v_lshlrev_b32_sdwa v23, v19, v25 dst_sel:DWORD dst_unused:UNUSED_PAD src0_sel:DWORD src1_sel:BYTE_0
	v_add3_u32 v2, 0, v2, v23
	v_sub_f32_e32 v23, v54, v60
	v_add_f32_e32 v18, v18, v52
	v_fmamk_f32 v25, v23, 0xbf5db3d7, v3
	ds_write2_b32 v2, v18, v25 offset1:48
	v_fmac_f32_e32 v3, 0x3f5db3d7, v23
	v_add_f32_e32 v18, v51, v55
	v_fma_f32 v23, -0.5, v18, v0
	ds_write_b32 v2, v3 offset:384
	v_sub_f32_e32 v3, v57, v61
	v_fmamk_f32 v18, v3, 0xbf5db3d7, v23
	v_fmac_f32_e32 v23, 0x3f5db3d7, v3
	v_add_f32_e32 v3, v50, v53
	v_add_f32_e32 v25, v1, v50
	v_fmac_f32_e32 v1, -0.5, v3
	v_mul_u32_u24_e32 v3, 0x240, v69
	v_lshlrev_b32_sdwa v33, v19, v72 dst_sel:DWORD dst_unused:UNUSED_PAD src0_sel:DWORD src1_sel:BYTE_0
	v_add_f32_e32 v0, v0, v51
	v_add3_u32 v3, 0, v3, v33
	v_add_f32_e32 v0, v0, v55
	ds_write2_b32 v3, v0, v18 offset1:48
	v_sub_f32_e32 v0, v58, v63
	v_fmamk_f32 v33, v0, 0xbf5db3d7, v1
	v_fmac_f32_e32 v1, 0x3f5db3d7, v0
	v_add_f32_e32 v0, v56, v59
	v_fma_f32 v18, -0.5, v0, v16
	v_sub_f32_e32 v0, v8, v10
	v_fmamk_f32 v36, v0, 0xbf5db3d7, v18
	v_fmac_f32_e32 v18, 0x3f5db3d7, v0
	v_lshlrev_b32_sdwa v0, v19, v74 dst_sel:DWORD dst_unused:UNUSED_PAD src0_sel:DWORD src1_sel:BYTE_0
	v_mul_u32_u24_e32 v19, 0x240, v73
	ds_write_b32 v3, v23 offset:384
	v_add_f32_e32 v23, v25, v53
	v_add3_u32 v0, 0, v19, v0
	v_add_f32_e32 v16, v16, v56
	ds_write2_b32 v0, v23, v33 offset1:48
	ds_write_b32 v0, v1 offset:384
	v_mul_u32_u24_e32 v1, 0x240, v75
	v_lshlrev_b32_e32 v19, 2, v76
	v_add_f32_e32 v16, v16, v59
	v_add3_u32 v1, 0, v1, v19
	ds_write2_b32 v1, v16, v36 offset1:48
	ds_write_b32 v1, v18 offset:384
	v_mul_u32_u24_e32 v16, 0x240, v77
	v_lshlrev_b32_e32 v19, 2, v78
	v_fmac_f32_e32 v17, 0xbf5db3d7, v32
	v_add3_u32 v65, 0, v16, v19
	ds_write2_b32 v65, v21, v17 offset1:48
	ds_write_b32 v65, v20 offset:384
	s_waitcnt lgkmcnt(0)
	; wave barrier
	s_waitcnt lgkmcnt(0)
	ds_read2_b32 v[40:41], v62 offset1:56
	ds_read2_b32 v[32:33], v62 offset0:144 offset1:200
	ds_read2_b32 v[44:45], v34 offset0:32 offset1:88
	;; [unrolled: 1-line block ×6, first 2 shown]
	v_cmp_gt_u32_e32 vcc, 32, v12
                                        ; implicit-def: $vgpr22_vgpr23
	s_and_saveexec_b64 s[6:7], s[2:3]
	s_xor_b64 s[6:7], exec, s[6:7]
; %bb.14:
	v_mov_b64_e32 v[22:23], v[20:21]
; %bb.15:
	s_or_saveexec_b64 s[6:7], s[6:7]
                                        ; implicit-def: $vgpr24
                                        ; implicit-def: $vgpr16
	s_xor_b64 exec, exec, s[6:7]
	s_cbranch_execz .LBB0_17
; %bb.16:
	v_add_u32_e32 v16, 0x100, v62
	v_add_u32_e32 v17, 0x600, v62
	ds_read2_b32 v[20:21], v17 offset0:16 offset1:160
	ds_read2_b32 v[18:19], v16 offset0:48 offset1:192
	v_add_u32_e32 v16, 0xa00, v62
	ds_read2_b32 v[24:25], v16 offset0:48 offset1:192
	ds_read_b32 v16, v62 offset:3904
	s_waitcnt lgkmcnt(3)
	v_mov_b32_e32 v22, v21
	s_waitcnt lgkmcnt(2)
	v_mov_b32_e32 v23, v19
	v_mov_b32_e32 v17, v20
	;; [unrolled: 1-line block ×3, first 2 shown]
.LBB0_17:
	s_or_b64 exec, exec, s[6:7]
	v_add_f32_e32 v21, v35, v48
	v_add_f32_e32 v19, v6, v35
	v_fma_f32 v6, -0.5, v21, v6
	v_sub_f32_e32 v9, v9, v31
	v_fmamk_f32 v21, v9, 0x3f5db3d7, v6
	v_fmac_f32_e32 v6, 0xbf5db3d7, v9
	v_add_f32_e32 v9, v7, v54
	v_add_f32_e32 v66, v9, v60
	;; [unrolled: 1-line block ×3, first 2 shown]
	v_fmac_f32_e32 v7, -0.5, v9
	v_sub_f32_e32 v9, v49, v52
	v_fmamk_f32 v52, v9, 0x3f5db3d7, v7
	v_fmac_f32_e32 v7, 0xbf5db3d7, v9
	v_add_f32_e32 v9, v4, v57
	v_add_f32_e32 v54, v9, v61
	;; [unrolled: 1-line block ×3, first 2 shown]
	v_fma_f32 v4, -0.5, v9, v4
	v_sub_f32_e32 v9, v51, v55
	v_fmamk_f32 v51, v9, 0x3f5db3d7, v4
	v_fmac_f32_e32 v4, 0xbf5db3d7, v9
	v_add_f32_e32 v9, v5, v58
	v_add_f32_e32 v55, v9, v63
	;; [unrolled: 1-line block ×3, first 2 shown]
	s_mov_b32 s7, 0x3f5db3d7
	v_fmac_f32_e32 v5, -0.5, v9
	v_sub_f32_e32 v9, v50, v53
	v_add_f32_e32 v19, v19, v48
	v_fmamk_f32 v50, v9, 0x3f5db3d7, v5
	v_fmac_f32_e32 v5, 0xbf5db3d7, v9
	v_add_f32_e32 v9, v28, v8
	v_pk_mul_f32 v[48:49], v[26:27], s[6:7]
	v_mov_b32_e32 v35, 0x3f5db3d7
	v_mov_b32_e32 v34, v29
	v_add_f32_e32 v48, v9, v10
	v_mov_b32_e32 v9, v26
	v_pk_add_f32 v[34:35], v[34:35], v[26:27]
	v_pk_add_f32 v[8:9], v[8:9], v[10:11]
	v_sub_f32_e32 v31, v56, v59
	v_mov_b32_e32 v35, v49
	v_pk_fma_f32 v[8:9], -0.5, v[8:9], v[28:29] op_sel_hi:[0,1,1]
	v_mul_f32_e32 v30, 0x3f5db3d7, v31
	v_fmamk_f32 v49, v31, 0x3f5db3d7, v8
	v_mov_b32_e32 v10, v11
	v_mov_b32_e32 v11, v9
	;; [unrolled: 1-line block ×3, first 2 shown]
	v_pk_add_f32 v[28:29], v[34:35], v[10:11]
	v_pk_add_f32 v[26:27], v[8:9], v[30:31] neg_lo:[0,1] neg_hi:[0,1]
	s_waitcnt lgkmcnt(0)
	; wave barrier
	s_waitcnt lgkmcnt(0)
	ds_write2_b32 v64, v19, v21 offset1:48
	ds_write_b32 v64, v6 offset:384
	ds_write2_b32 v2, v66, v52 offset1:48
	ds_write_b32 v2, v7 offset:384
	;; [unrolled: 2-line block ×6, first 2 shown]
	v_add_u32_e32 v0, 0x400, v62
	s_waitcnt lgkmcnt(0)
	; wave barrier
	s_waitcnt lgkmcnt(0)
	ds_read2_b32 v[48:49], v62 offset1:56
	ds_read2_b32 v[50:51], v62 offset0:144 offset1:200
	ds_read2_b32 v[58:59], v0 offset0:32 offset1:88
	;; [unrolled: 1-line block ×3, first 2 shown]
	v_add_u32_e32 v0, 0x800, v62
	ds_read2_b32 v[52:53], v0 offset0:64 offset1:120
	v_add_u32_e32 v0, 0xa00, v62
	ds_read2_b32 v[60:61], v0 offset0:80 offset1:136
	;; [unrolled: 2-line block ×3, first 2 shown]
	s_and_saveexec_b64 s[6:7], s[2:3]
	s_xor_b64 s[2:3], exec, s[6:7]
                                        ; implicit-def: $vgpr35
; %bb.18:
                                        ; implicit-def: $vgpr62
; %bb.19:
	s_or_saveexec_b64 s[2:3], s[2:3]
                                        ; implicit-def: $vgpr34
                                        ; implicit-def: $vgpr30
	s_xor_b64 exec, exec, s[2:3]
	s_cbranch_execz .LBB0_21
; %bb.20:
	v_add_u32_e32 v0, 0x100, v62
	ds_read2_b32 v[26:27], v0 offset0:48 offset1:192
	v_add_u32_e32 v0, 0x600, v62
	ds_read2_b32 v[0:1], v0 offset0:16 offset1:160
	;; [unrolled: 2-line block ×3, first 2 shown]
	ds_read_b32 v30, v62 offset:3904
	s_waitcnt lgkmcnt(3)
	v_mov_b32_e32 v28, v27
	s_waitcnt lgkmcnt(2)
	v_mov_b32_e32 v29, v0
	v_mov_b32_e32 v27, v1
	s_or_b64 exec, exec, s[2:3]
	s_and_saveexec_b64 s[2:3], s[0:1]
	s_cbranch_execz .LBB0_24
	s_branch .LBB0_22
.LBB0_21:
	s_or_b64 exec, exec, s[2:3]
	s_and_saveexec_b64 s[2:3], s[0:1]
	s_cbranch_execz .LBB0_24
.LBB0_22:
	v_mul_u32_u24_e32 v0, 6, v12
	v_lshlrev_b32_e32 v19, 3, v0
	global_load_dwordx4 v[4:7], v19, s[4:5] offset:1136
	global_load_dwordx4 v[8:11], v19, s[4:5] offset:1168
	;; [unrolled: 1-line block ×3, first 2 shown]
	v_mov_b32_e32 v67, v42
	v_mul_u32_u24_e32 v13, 6, v13
	v_mov_b32_e32 v62, v40
	s_waitcnt lgkmcnt(6)
	v_mov_b32_e32 v63, v48
	v_mov_b32_e32 v66, v38
	v_lshlrev_b32_e32 v19, 3, v13
	v_mov_b32_e32 v84, v36
	v_mov_b32_e32 v85, v32
	s_waitcnt lgkmcnt(3)
	v_mov_b32_e32 v64, v56
	s_waitcnt lgkmcnt(0)
	v_mov_b32_e32 v65, v54
	v_mov_b32_e32 v74, v52
	;; [unrolled: 1-line block ×3, first 2 shown]
	s_mov_b32 s8, 0xbeae86e6
	s_mov_b32 s6, 0x3f4a47b2
	s_mov_b32 s9, 0x3f08b237
	s_mov_b32 s7, 0x3d64c772
	s_mov_b32 s14, s9
	s_mov_b32 s15, s8
	s_mov_b32 s16, s7
	s_mov_b32 s17, s6
	s_mov_b32 s18, 0x3f955555
	s_mov_b32 s2, 0xbee1c552
	s_mov_b32 s12, 0xbf5ff5aa
	s_mov_b32 s10, 0x3f3bfb3b
	global_load_dwordx4 v[70:73], v19, s[4:5] offset:1168
	s_movk_i32 s0, 0x1000
	s_waitcnt vmcnt(3)
	v_mul_f32_e32 v13, v58, v7
	s_waitcnt vmcnt(2)
	v_mul_f32_e32 v21, v60, v9
	v_mul_f32_e32 v31, v42, v11
	;; [unrolled: 1-line block ×5, first 2 shown]
	v_mov_b32_e32 v9, v10
	v_fmac_f32_e32 v21, v46, v8
	v_fma_f32 v77, v60, v8, -v42
	v_mov_b32_e32 v79, v4
	s_waitcnt vmcnt(1)
	v_mov_b32_e32 v8, v1
	v_mov_b32_e32 v78, v3
	;; [unrolled: 1-line block ×3, first 2 shown]
	v_fma_f32 v11, v54, v10, -v31
	v_fmac_f32_e32 v13, v44, v6
	v_fma_f32 v81, v50, v4, -v40
	v_fma_f32 v83, v58, v6, -v48
	v_mul_f32_e32 v80, v36, v2
	v_mul_f32_e32 v10, v52, v3
	;; [unrolled: 1-line block ×4, first 2 shown]
	v_mov_b32_e32 v6, v0
	v_mov_b32_e32 v4, v2
	v_pk_mul_f32 v[8:9], v[66:67], v[8:9]
	v_pk_mul_f32 v[66:67], v[84:85], v[78:79]
	v_sub_f32_e32 v78, v81, v11
	v_pk_add_f32 v[10:11], v[80:81], v[10:11]
	v_pk_fma_f32 v[6:7], v[64:65], v[6:7], v[8:9]
	v_pk_add_f32 v[64:65], v[82:83], v[76:77]
	v_pk_fma_f32 v[0:1], v[56:57], v[0:1], v[8:9] neg_lo:[0,0,1] neg_hi:[0,0,1]
	v_pk_fma_f32 v[2:3], v[52:53], v[2:3], v[66:67] neg_lo:[0,0,1] neg_hi:[0,0,1]
	v_pk_fma_f32 v[4:5], v[74:75], v[4:5], v[66:67]
	v_mov_b32_e32 v6, v77
	v_mov_b32_e32 v4, v83
	;; [unrolled: 1-line block ×8, first 2 shown]
	v_pk_add_f32 v[74:75], v[2:3], v[0:1]
	v_pk_add_f32 v[0:1], v[2:3], v[0:1] neg_lo:[0,1] neg_hi:[0,1]
	v_pk_add_f32 v[2:3], v[4:5], v[6:7] neg_lo:[0,1] neg_hi:[0,1]
	v_sub_f32_e32 v81, v13, v21
	v_add_f32_e32 v84, v13, v21
	v_mov_b32_e32 v79, v3
	v_mov_b32_e32 v80, v0
	;; [unrolled: 1-line block ×3, first 2 shown]
	v_pk_add_f32 v[8:9], v[10:11], v[64:65]
	v_mov_b32_e32 v4, v0
	v_pk_add_f32 v[6:7], v[0:1], v[2:3] neg_lo:[0,1] neg_hi:[0,1]
	v_pk_add_f32 v[76:77], v[78:79], v[80:81] neg_lo:[0,1] neg_hi:[0,1]
	v_mov_b32_e32 v79, v1
	v_pk_add_f32 v[0:1], v[66:67], v[84:85]
	v_mov_b32_e32 v5, v3
	v_pk_add_f32 v[66:67], v[0:1], v[8:9]
	v_mov_b32_e32 v0, v75
	v_mov_b32_e32 v9, v65
	;; [unrolled: 1-line block ×4, first 2 shown]
	v_pk_add_f32 v[0:1], v[0:1], v[8:9] neg_lo:[0,1] neg_hi:[0,1]
	v_mov_b32_e32 v9, v11
	v_pk_mul_f32 v[2:3], v[76:77], s[8:9]
	v_pk_add_f32 v[4:5], v[4:5], v[80:81]
	v_pk_add_f32 v[62:63], v[62:63], v[66:67]
	v_pk_mul_f32 v[82:83], v[0:1], s[6:7]
	v_pk_add_f32 v[8:9], v[8:9], v[84:85] neg_lo:[0,1] neg_hi:[0,1]
	v_pk_add_f32 v[76:77], v[78:79], v[4:5]
	v_pk_fma_f32 v[4:5], v[6:7], s[14:15], v[2:3]
	v_pk_fma_f32 v[0:1], v[8:9], s[16:17], v[82:83]
	v_pk_fma_f32 v[66:67], v[66:67], s[18:19], v[62:63] op_sel_hi:[1,0,1] neg_lo:[1,0,0] neg_hi:[1,0,0]
	v_pk_fma_f32 v[4:5], v[76:77], s[2:3], v[4:5] op_sel_hi:[1,0,1]
	v_pk_add_f32 v[0:1], v[0:1], v[66:67]
	v_mov_b32_e32 v13, 0
	v_pk_add_f32 v[86:87], v[0:1], v[4:5]
	v_pk_add_f32 v[88:89], v[0:1], v[4:5] neg_lo:[0,1] neg_hi:[0,1]
	v_lshl_add_u64 v[0:1], v[12:13], 3, v[14:15]
	global_store_dwordx2 v[0:1], v[62:63], off
	v_mov_b32_e32 v4, v86
	v_mov_b32_e32 v5, v89
	v_pk_mul_f32 v[62:63], v[6:7], s[14:15]
	global_store_dwordx2 v[0:1], v[4:5], off offset:1152
	v_mov_b32_e32 v10, v75
	v_pk_add_f32 v[74:75], v[80:81], v[78:79] neg_lo:[0,1] neg_hi:[0,1]
	v_mov_b32_e32 v4, v2
	v_mov_b32_e32 v5, v63
	v_pk_mul_f32 v[90:91], v[8:9], s[16:17]
	v_mov_b32_e32 v85, v65
	v_pk_fma_f32 v[4:5], v[74:75], s[12:13], v[4:5] op_sel_hi:[1,0,1] neg_lo:[1,0,1] neg_hi:[1,0,1]
	v_pk_add_f32 v[64:65], v[84:85], v[10:11] neg_lo:[0,1] neg_hi:[0,1]
	v_pk_fma_f32 v[8:9], v[76:77], s[2:3], v[4:5] op_sel_hi:[1,0,1]
	v_mov_b32_e32 v4, v82
	v_mov_b32_e32 v5, v91
	v_pk_fma_f32 v[4:5], v[64:65], s[10:11], v[4:5] op_sel_hi:[1,0,1] neg_lo:[1,0,1] neg_hi:[1,0,1]
	s_waitcnt vmcnt(2)
	v_mul_f32_e32 v21, v47, v71
	v_pk_add_f32 v[10:11], v[4:5], v[66:67]
	global_load_dwordx4 v[4:7], v19, s[4:5] offset:1136
	v_pk_add_f32 v[78:79], v[10:11], v[8:9]
	v_pk_add_f32 v[80:81], v[10:11], v[8:9] neg_lo:[0,1] neg_hi:[0,1]
	v_mov_b32_e32 v8, v78
	v_mov_b32_e32 v9, v81
	global_store_dwordx2 v[0:1], v[8:9], off offset:2304
	global_load_dwordx4 v[8:11], v19, s[4:5] offset:1152
	v_mul_f32_e32 v19, v61, v71
	v_mov_b32_e32 v63, v3
	v_mov_b32_e32 v91, v83
	v_fmac_f32_e32 v19, v47, v70
	v_fma_f32 v47, v61, v70, -v21
	v_pk_fma_f32 v[2:3], v[74:75], s[12:13], v[62:63] op_sel_hi:[1,0,1] neg_lo:[0,0,1] neg_hi:[0,0,1]
	v_mov_b32_e32 v54, v57
	v_pk_fma_f32 v[2:3], v[76:77], s[2:3], v[2:3] op_sel_hi:[1,0,1]
	v_mov_b32_e32 v42, v39
	v_mov_b32_e32 v48, v41
	;; [unrolled: 1-line block ×7, first 2 shown]
	s_waitcnt vmcnt(2)
	v_mul_f32_e32 v21, v59, v7
	v_mul_f32_e32 v7, v45, v7
	v_fma_f32 v7, v59, v6, -v7
	v_pk_fma_f32 v[58:59], v[64:65], s[10:11], v[90:91] op_sel_hi:[1,0,1] neg_lo:[0,0,1] neg_hi:[0,0,1]
	v_fmac_f32_e32 v21, v45, v6
	v_pk_add_f32 v[58:59], v[58:59], v[66:67]
	v_mul_f32_e32 v6, v43, v73
	v_pk_add_f32 v[62:63], v[58:59], v[2:3] neg_lo:[0,1] neg_hi:[0,1]
	v_pk_add_f32 v[58:59], v[58:59], v[2:3]
	v_mov_b32_e32 v2, v62
	v_mov_b32_e32 v3, v59
	global_store_dwordx2 v[0:1], v[2:3], off offset:3456
	v_add_co_u32_e64 v2, s[0:1], s0, v0
	v_fma_f32 v61, v55, v72, -v6
	s_waitcnt vmcnt(1)
	v_mul_f32_e32 v6, v39, v8
	v_mul_f32_e32 v46, v57, v9
	v_mov_b32_e32 v59, v63
	v_addc_co_u32_e64 v3, s[0:1], 0, v1, s[0:1]
	global_store_dwordx2 v[2:3], v[58:59], off offset:512
	v_pk_add_f32 v[58:59], v[6:7], v[46:47]
	v_mov_b32_e32 v6, v57
	v_mov_b32_e32 v56, v9
	v_mov_b32_e32 v57, v72
	v_mov_b32_e32 v40, v8
	v_pk_mul_f32 v[42:43], v[42:43], v[56:57]
	v_mul_f32_e32 v31, v33, v5
	v_pk_fma_f32 v[8:9], v[6:7], v[8:9], v[42:43] neg_lo:[0,0,1] neg_hi:[0,0,1]
	v_pk_fma_f32 v[40:41], v[54:55], v[40:41], v[42:43]
	v_mov_b32_e32 v42, v11
	v_mov_b32_e32 v43, v4
	v_fma_f32 v45, v51, v4, -v31
	v_mov_b32_e32 v9, v41
	v_mov_b32_e32 v6, v53
	;; [unrolled: 1-line block ×4, first 2 shown]
	v_pk_mul_f32 v[4:5], v[32:33], v[42:43]
	v_mul_f32_e32 v44, v37, v10
	v_mul_f32_e32 v60, v53, v11
	v_pk_fma_f32 v[10:11], v[6:7], v[10:11], v[4:5] neg_lo:[0,0,1] neg_hi:[0,0,1]
	v_pk_fma_f32 v[4:5], v[50:51], v[40:41], v[4:5]
	v_sub_f32_e32 v38, v45, v61
	v_mov_b32_e32 v11, v5
	v_pk_add_f32 v[44:45], v[44:45], v[60:61]
	v_pk_add_f32 v[4:5], v[10:11], v[8:9]
	v_add_f32_e32 v36, v21, v19
	v_mov_b32_e32 v6, v7
	v_mov_b32_e32 v7, v44
	;; [unrolled: 1-line block ×7, first 2 shown]
	v_pk_add_f32 v[60:61], v[44:45], v[58:59]
	v_pk_add_f32 v[32:33], v[10:11], v[8:9] neg_lo:[0,1] neg_hi:[0,1]
	v_pk_add_f32 v[6:7], v[6:7], v[40:41] neg_lo:[0,1] neg_hi:[0,1]
	v_pk_add_f32 v[8:9], v[46:47], v[36:37]
	v_sub_f32_e32 v65, v21, v19
	v_mov_b32_e32 v39, v7
	v_mov_b32_e32 v64, v32
	v_pk_add_f32 v[10:11], v[8:9], v[60:61]
	v_mov_b32_e32 v8, v5
	v_mov_b32_e32 v61, v59
	v_pk_add_f32 v[40:41], v[38:39], v[64:65] neg_lo:[0,1] neg_hi:[0,1]
	v_mov_b32_e32 v42, v32
	v_mov_b32_e32 v43, v7
	;; [unrolled: 1-line block ×3, first 2 shown]
	v_pk_add_f32 v[46:47], v[48:49], v[10:11]
	v_pk_add_f32 v[48:49], v[8:9], v[60:61] neg_lo:[0,1] neg_hi:[0,1]
	v_mov_b32_e32 v61, v45
	v_mov_b32_e32 v37, v9
	v_pk_mul_f32 v[40:41], v[40:41], s[8:9]
	v_pk_add_f32 v[42:43], v[42:43], v[64:65]
	v_mov_b32_e32 v39, v33
	v_pk_add_f32 v[6:7], v[32:33], v[6:7] neg_lo:[0,1] neg_hi:[0,1]
	v_pk_mul_f32 v[48:49], v[48:49], s[6:7]
	v_pk_add_f32 v[8:9], v[60:61], v[36:37] neg_lo:[0,1] neg_hi:[0,1]
	v_pk_add_f32 v[42:43], v[38:39], v[42:43]
	v_pk_mul_f32 v[32:33], v[6:7], s[14:15]
	v_pk_fma_f32 v[6:7], v[6:7], s[14:15], v[40:41]
	v_pk_mul_f32 v[50:51], v[8:9], s[16:17]
	v_pk_fma_f32 v[8:9], v[8:9], s[16:17], v[48:49]
	v_pk_fma_f32 v[10:11], v[10:11], s[18:19], v[46:47] op_sel_hi:[1,0,1] neg_lo:[1,0,0] neg_hi:[1,0,0]
	v_pk_fma_f32 v[6:7], v[42:43], s[2:3], v[6:7] op_sel_hi:[1,0,1]
	v_pk_add_f32 v[8:9], v[8:9], v[10:11]
	v_mov_b32_e32 v37, v59
	v_pk_add_f32 v[52:53], v[8:9], v[6:7]
	v_pk_add_f32 v[6:7], v[8:9], v[6:7] neg_lo:[0,1] neg_hi:[0,1]
	v_mov_b32_e32 v8, v52
	v_mov_b32_e32 v9, v7
	;; [unrolled: 1-line block ×3, first 2 shown]
	global_store_dwordx2 v[0:1], v[8:9], off offset:1600
	v_pk_add_f32 v[4:5], v[36:37], v[44:45] neg_lo:[0,1] neg_hi:[0,1]
	v_pk_add_f32 v[8:9], v[64:65], v[38:39] neg_lo:[0,1] neg_hi:[0,1]
	v_mov_b32_e32 v36, v40
	v_mov_b32_e32 v37, v33
	;; [unrolled: 1-line block ×6, first 2 shown]
	v_pk_fma_f32 v[36:37], v[8:9], s[12:13], v[36:37] op_sel_hi:[1,0,1] neg_lo:[1,0,1] neg_hi:[1,0,1]
	v_pk_fma_f32 v[38:39], v[4:5], s[10:11], v[38:39] op_sel_hi:[1,0,1] neg_lo:[1,0,1] neg_hi:[1,0,1]
	v_pk_fma_f32 v[8:9], v[8:9], s[12:13], v[32:33] op_sel_hi:[1,0,1] neg_lo:[0,0,1] neg_hi:[0,0,1]
	v_pk_fma_f32 v[4:5], v[4:5], s[10:11], v[50:51] op_sel_hi:[1,0,1] neg_lo:[0,0,1] neg_hi:[0,0,1]
	v_pk_fma_f32 v[36:37], v[42:43], s[2:3], v[36:37] op_sel_hi:[1,0,1]
	v_pk_add_f32 v[38:39], v[38:39], v[10:11]
	v_pk_fma_f32 v[8:9], v[42:43], s[2:3], v[8:9] op_sel_hi:[1,0,1]
	v_pk_add_f32 v[4:5], v[4:5], v[10:11]
	v_pk_add_f32 v[44:45], v[38:39], v[36:37]
	v_pk_add_f32 v[36:37], v[38:39], v[36:37] neg_lo:[0,1] neg_hi:[0,1]
	v_pk_add_f32 v[10:11], v[4:5], v[8:9] neg_lo:[0,1] neg_hi:[0,1]
	v_pk_add_f32 v[4:5], v[4:5], v[8:9]
	v_mov_b32_e32 v38, v44
	v_mov_b32_e32 v39, v37
	;; [unrolled: 1-line block ×7, first 2 shown]
	global_store_dwordx2 v[2:3], v[80:81], off offset:1664
	global_store_dwordx2 v[2:3], v[88:89], off offset:2816
	;; [unrolled: 1-line block ×8, first 2 shown]
	s_and_b64 exec, exec, vcc
	s_cbranch_execz .LBB0_24
; %bb.23:
	v_subrev_u32_e32 v4, 32, v12
	v_cndmask_b32_e32 v4, v4, v68, vcc
	v_mul_i32_i24_e32 v4, 6, v4
	v_mov_b32_e32 v5, v13
	v_lshl_add_u64 v[32:33], v[4:5], 3, s[4:5]
	global_load_dwordx4 v[4:7], v[32:33], off offset:1152
	global_load_dwordx4 v[8:11], v[32:33], off offset:1136
	;; [unrolled: 1-line block ×3, first 2 shown]
	v_mov_b32_e32 v19, v26
	v_mov_b32_e32 v26, v17
	;; [unrolled: 1-line block ×5, first 2 shown]
	s_mov_b32 s0, 0xbf955555
	s_mov_b32 s4, s7
	;; [unrolled: 1-line block ×3, first 2 shown]
	s_waitcnt vmcnt(2)
	v_mul_f32_e32 v44, v20, v4
	v_mul_f32_e32 v46, v27, v5
	;; [unrolled: 1-line block ×6, first 2 shown]
	s_waitcnt vmcnt(1)
	v_pk_mul_f32 v[22:23], v[22:23], v[8:9] op_sel:[1,0]
	v_pk_mul_f32 v[24:25], v[26:27], v[10:11] op_sel_hi:[0,1]
	s_waitcnt vmcnt(0)
	v_pk_mul_f32 v[42:43], v[42:43], v[36:37] op_sel_hi:[0,1]
	v_pk_mul_f32 v[16:17], v[16:17], v[38:39] op_sel_hi:[0,1]
	v_fma_f32 v4, v27, v4, -v5
	v_pk_fma_f32 v[26:27], v[28:29], v[8:9], v[22:23] op_sel:[0,0,1] op_sel_hi:[1,1,0] neg_lo:[0,0,1] neg_hi:[0,0,1]
	v_pk_fma_f32 v[8:9], v[28:29], v[8:9], v[22:23] op_sel:[0,0,1] op_sel_hi:[0,1,0]
	v_pk_fma_f32 v[22:23], v[28:29], v[10:11], v[24:25] op_sel:[1,0,1] op_sel_hi:[1,1,0] neg_lo:[0,0,1] neg_hi:[0,0,1]
	v_pk_fma_f32 v[10:11], v[28:29], v[10:11], v[24:25] op_sel:[1,0,1] op_sel_hi:[1,1,0]
	;; [unrolled: 2-line block ×4, first 2 shown]
	v_mov_b32_e32 v27, v9
	v_mov_b32_e32 v23, v11
	;; [unrolled: 1-line block ×8, first 2 shown]
	v_fma_f32 v6, v34, v6, -v7
	v_pk_add_f32 v[16:17], v[26:27], v[32:33]
	v_pk_add_f32 v[28:29], v[22:23], v[24:25]
	v_pk_add_f32 v[22:23], v[22:23], v[24:25] neg_lo:[0,1] neg_hi:[0,1]
	v_pk_add_f32 v[20:21], v[20:21], v[48:49]
	v_pk_add_f32 v[24:25], v[44:45], v[46:47]
	v_mov_b32_e32 v9, v4
	v_mov_b32_e32 v11, v6
	;; [unrolled: 1-line block ×6, first 2 shown]
	v_pk_add_f32 v[26:27], v[26:27], v[32:33] neg_lo:[0,1] neg_hi:[0,1]
	v_pk_add_f32 v[32:33], v[24:25], v[20:21]
	v_pk_add_f32 v[4:5], v[6:7], v[4:5] neg_lo:[0,1] neg_hi:[0,1]
	v_pk_add_f32 v[6:7], v[8:9], v[10:11]
	v_pk_add_f32 v[30:31], v[22:23], v[26:27] neg_lo:[0,1] neg_hi:[0,1]
	v_mov_b32_e32 v24, v29
	v_mov_b32_e32 v20, v17
	;; [unrolled: 1-line block ×4, first 2 shown]
	v_pk_add_f32 v[8:9], v[24:25], v[20:21] neg_lo:[0,1] neg_hi:[0,1]
	v_pk_mul_f32 v[16:17], v[30:31], s[12:13] op_sel_hi:[1,0]
	v_pk_add_f32 v[28:29], v[4:5], v[22:23]
	v_pk_add_f32 v[30:31], v[26:27], v[4:5] neg_lo:[0,1] neg_hi:[0,1]
	v_pk_add_f32 v[6:7], v[6:7], v[32:33]
	v_pk_add_f32 v[20:21], v[20:21], v[10:11] neg_lo:[0,1] neg_hi:[0,1]
	v_pk_mul_f32 v[32:33], v[8:9], s[10:11] op_sel_hi:[1,0]
	v_pk_add_f32 v[4:5], v[4:5], v[22:23] neg_lo:[0,1] neg_hi:[0,1]
	v_pk_add_f32 v[22:23], v[28:29], v[26:27]
	v_pk_add_f32 v[18:19], v[18:19], v[6:7]
	v_pk_mul_f32 v[26:27], v[30:31], s[8:9] op_sel_hi:[1,0]
	v_pk_add_f32 v[10:11], v[10:11], v[24:25] neg_lo:[0,1] neg_hi:[0,1]
	v_pk_mul_f32 v[20:21], v[20:21], s[6:7] op_sel_hi:[1,0]
	v_pk_fma_f32 v[28:29], v[30:31], s[8:9], v[16:17] op_sel_hi:[1,0,1] neg_lo:[1,0,1] neg_hi:[1,0,1]
	v_pk_fma_f32 v[16:17], v[4:5], s[14:15], v[16:17] op_sel_hi:[1,0,1] neg_lo:[1,0,0] neg_hi:[1,0,0]
	v_pk_fma_f32 v[6:7], v[6:7], s[0:1], v[18:19] op_sel_hi:[1,0,1]
	v_pk_fma_f32 v[24:25], v[10:11], s[4:5], v[32:33] op_sel_hi:[1,0,1] neg_lo:[1,0,0] neg_hi:[1,0,0]
	v_pk_fma_f32 v[4:5], v[4:5], s[14:15], v[26:27] op_sel_hi:[1,0,1]
	;; [unrolled: 2-line block ×3, first 2 shown]
	v_pk_add_f32 v[24:25], v[24:25], v[6:7]
	v_pk_fma_f32 v[4:5], v[22:23], s[2:3], v[4:5] op_sel_hi:[1,0,1]
	v_pk_add_f32 v[8:9], v[8:9], v[6:7]
	v_pk_add_f32 v[6:7], v[10:11], v[6:7]
	v_pk_fma_f32 v[26:27], v[22:23], s[2:3], v[28:29] op_sel_hi:[1,0,1]
	v_pk_add_f32 v[20:21], v[6:7], v[4:5]
	v_pk_add_f32 v[4:5], v[6:7], v[4:5] neg_lo:[0,1] neg_hi:[0,1]
	v_pk_add_f32 v[6:7], v[8:9], v[26:27]
	v_pk_add_f32 v[8:9], v[8:9], v[26:27] neg_lo:[0,1] neg_hi:[0,1]
	global_store_dwordx2 v[0:1], v[18:19], off offset:896
	v_mov_b32_e32 v18, v20
	v_mov_b32_e32 v19, v5
	v_pk_fma_f32 v[16:17], v[22:23], s[2:3], v[16:17] op_sel_hi:[1,0,1]
	global_store_dwordx2 v[0:1], v[18:19], off offset:2048
	v_mov_b32_e32 v18, v6
	v_mov_b32_e32 v19, v9
	v_pk_add_f32 v[10:11], v[24:25], v[16:17] neg_lo:[0,1] neg_hi:[0,1]
	v_pk_add_f32 v[16:17], v[24:25], v[16:17]
	global_store_dwordx2 v[0:1], v[18:19], off offset:3200
	v_or_b32_e32 v0, 0x220, v12
	v_mov_b32_e32 v1, v13
	v_lshl_add_u64 v[0:1], v[0:1], 3, v[14:15]
	v_mov_b32_e32 v18, v10
	v_mov_b32_e32 v19, v17
	v_or_b32_e32 v12, 0x340, v12
	global_store_dwordx2 v[0:1], v[18:19], off
	v_mov_b32_e32 v17, v11
	v_lshl_add_u64 v[0:1], v[12:13], 3, v[14:15]
	v_mov_b32_e32 v9, v7
	v_mov_b32_e32 v5, v21
	global_store_dwordx2 v[2:3], v[16:17], off offset:1408
	global_store_dwordx2 v[0:1], v[8:9], off
	global_store_dwordx2 v[2:3], v[4:5], off offset:3712
	s_endpgm
.LBB0_24:
	s_endpgm
	.section	.rodata,"a",@progbits
	.p2align	6, 0x0
	.amdhsa_kernel fft_rtc_back_len1008_factors_2_2_2_2_3_3_7_wgs_56_tpt_56_halfLds_sp_ip_CI_unitstride_sbrr_dirReg
		.amdhsa_group_segment_fixed_size 0
		.amdhsa_private_segment_fixed_size 0
		.amdhsa_kernarg_size 88
		.amdhsa_user_sgpr_count 2
		.amdhsa_user_sgpr_dispatch_ptr 0
		.amdhsa_user_sgpr_queue_ptr 0
		.amdhsa_user_sgpr_kernarg_segment_ptr 1
		.amdhsa_user_sgpr_dispatch_id 0
		.amdhsa_user_sgpr_kernarg_preload_length 0
		.amdhsa_user_sgpr_kernarg_preload_offset 0
		.amdhsa_user_sgpr_private_segment_size 0
		.amdhsa_uses_dynamic_stack 0
		.amdhsa_enable_private_segment 0
		.amdhsa_system_sgpr_workgroup_id_x 1
		.amdhsa_system_sgpr_workgroup_id_y 0
		.amdhsa_system_sgpr_workgroup_id_z 0
		.amdhsa_system_sgpr_workgroup_info 0
		.amdhsa_system_vgpr_workitem_id 0
		.amdhsa_next_free_vgpr 92
		.amdhsa_next_free_sgpr 22
		.amdhsa_accum_offset 92
		.amdhsa_reserve_vcc 1
		.amdhsa_float_round_mode_32 0
		.amdhsa_float_round_mode_16_64 0
		.amdhsa_float_denorm_mode_32 3
		.amdhsa_float_denorm_mode_16_64 3
		.amdhsa_dx10_clamp 1
		.amdhsa_ieee_mode 1
		.amdhsa_fp16_overflow 0
		.amdhsa_tg_split 0
		.amdhsa_exception_fp_ieee_invalid_op 0
		.amdhsa_exception_fp_denorm_src 0
		.amdhsa_exception_fp_ieee_div_zero 0
		.amdhsa_exception_fp_ieee_overflow 0
		.amdhsa_exception_fp_ieee_underflow 0
		.amdhsa_exception_fp_ieee_inexact 0
		.amdhsa_exception_int_div_zero 0
	.end_amdhsa_kernel
	.text
.Lfunc_end0:
	.size	fft_rtc_back_len1008_factors_2_2_2_2_3_3_7_wgs_56_tpt_56_halfLds_sp_ip_CI_unitstride_sbrr_dirReg, .Lfunc_end0-fft_rtc_back_len1008_factors_2_2_2_2_3_3_7_wgs_56_tpt_56_halfLds_sp_ip_CI_unitstride_sbrr_dirReg
                                        ; -- End function
	.section	.AMDGPU.csdata,"",@progbits
; Kernel info:
; codeLenInByte = 10576
; NumSgprs: 28
; NumVgprs: 92
; NumAgprs: 0
; TotalNumVgprs: 92
; ScratchSize: 0
; MemoryBound: 0
; FloatMode: 240
; IeeeMode: 1
; LDSByteSize: 0 bytes/workgroup (compile time only)
; SGPRBlocks: 3
; VGPRBlocks: 11
; NumSGPRsForWavesPerEU: 28
; NumVGPRsForWavesPerEU: 92
; AccumOffset: 92
; Occupancy: 5
; WaveLimiterHint : 1
; COMPUTE_PGM_RSRC2:SCRATCH_EN: 0
; COMPUTE_PGM_RSRC2:USER_SGPR: 2
; COMPUTE_PGM_RSRC2:TRAP_HANDLER: 0
; COMPUTE_PGM_RSRC2:TGID_X_EN: 1
; COMPUTE_PGM_RSRC2:TGID_Y_EN: 0
; COMPUTE_PGM_RSRC2:TGID_Z_EN: 0
; COMPUTE_PGM_RSRC2:TIDIG_COMP_CNT: 0
; COMPUTE_PGM_RSRC3_GFX90A:ACCUM_OFFSET: 22
; COMPUTE_PGM_RSRC3_GFX90A:TG_SPLIT: 0
	.text
	.p2alignl 6, 3212836864
	.fill 256, 4, 3212836864
	.type	__hip_cuid_4cc1ede59380a23a,@object ; @__hip_cuid_4cc1ede59380a23a
	.section	.bss,"aw",@nobits
	.globl	__hip_cuid_4cc1ede59380a23a
__hip_cuid_4cc1ede59380a23a:
	.byte	0                               ; 0x0
	.size	__hip_cuid_4cc1ede59380a23a, 1

	.ident	"AMD clang version 19.0.0git (https://github.com/RadeonOpenCompute/llvm-project roc-6.4.0 25133 c7fe45cf4b819c5991fe208aaa96edf142730f1d)"
	.section	".note.GNU-stack","",@progbits
	.addrsig
	.addrsig_sym __hip_cuid_4cc1ede59380a23a
	.amdgpu_metadata
---
amdhsa.kernels:
  - .agpr_count:     0
    .args:
      - .actual_access:  read_only
        .address_space:  global
        .offset:         0
        .size:           8
        .value_kind:     global_buffer
      - .offset:         8
        .size:           8
        .value_kind:     by_value
      - .actual_access:  read_only
        .address_space:  global
        .offset:         16
        .size:           8
        .value_kind:     global_buffer
      - .actual_access:  read_only
        .address_space:  global
        .offset:         24
        .size:           8
        .value_kind:     global_buffer
      - .offset:         32
        .size:           8
        .value_kind:     by_value
      - .actual_access:  read_only
        .address_space:  global
        .offset:         40
        .size:           8
        .value_kind:     global_buffer
      - .actual_access:  read_only
        .address_space:  global
        .offset:         48
        .size:           8
        .value_kind:     global_buffer
      - .offset:         56
        .size:           4
        .value_kind:     by_value
      - .actual_access:  read_only
        .address_space:  global
        .offset:         64
        .size:           8
        .value_kind:     global_buffer
      - .actual_access:  read_only
        .address_space:  global
        .offset:         72
        .size:           8
        .value_kind:     global_buffer
      - .address_space:  global
        .offset:         80
        .size:           8
        .value_kind:     global_buffer
    .group_segment_fixed_size: 0
    .kernarg_segment_align: 8
    .kernarg_segment_size: 88
    .language:       OpenCL C
    .language_version:
      - 2
      - 0
    .max_flat_workgroup_size: 56
    .name:           fft_rtc_back_len1008_factors_2_2_2_2_3_3_7_wgs_56_tpt_56_halfLds_sp_ip_CI_unitstride_sbrr_dirReg
    .private_segment_fixed_size: 0
    .sgpr_count:     28
    .sgpr_spill_count: 0
    .symbol:         fft_rtc_back_len1008_factors_2_2_2_2_3_3_7_wgs_56_tpt_56_halfLds_sp_ip_CI_unitstride_sbrr_dirReg.kd
    .uniform_work_group_size: 1
    .uses_dynamic_stack: false
    .vgpr_count:     92
    .vgpr_spill_count: 0
    .wavefront_size: 64
amdhsa.target:   amdgcn-amd-amdhsa--gfx950
amdhsa.version:
  - 1
  - 2
...

	.end_amdgpu_metadata
